;; amdgpu-corpus repo=ROCm/rocFFT kind=compiled arch=gfx1030 opt=O3
	.text
	.amdgcn_target "amdgcn-amd-amdhsa--gfx1030"
	.amdhsa_code_object_version 6
	.protected	bluestein_single_fwd_len169_dim1_half_op_CI_CI ; -- Begin function bluestein_single_fwd_len169_dim1_half_op_CI_CI
	.globl	bluestein_single_fwd_len169_dim1_half_op_CI_CI
	.p2align	8
	.type	bluestein_single_fwd_len169_dim1_half_op_CI_CI,@function
bluestein_single_fwd_len169_dim1_half_op_CI_CI: ; @bluestein_single_fwd_len169_dim1_half_op_CI_CI
; %bb.0:
	s_load_dwordx4 s[12:15], s[4:5], 0x28
	v_mul_u32_u24_e32 v1, 0x13b2, v0
	s_mov_b32 s0, exec_lo
	v_lshrrev_b32_e32 v1, 16, v1
	v_mad_u64_u32 v[12:13], null, s6, 19, v[1:2]
	v_mov_b32_e32 v13, 0
	s_waitcnt lgkmcnt(0)
	v_cmpx_gt_u64_e64 s[12:13], v[12:13]
	s_cbranch_execz .LBB0_2
; %bb.1:
	s_clause 0x1
	s_load_dwordx4 s[8:11], s[4:5], 0x18
	s_load_dwordx4 s[0:3], s[4:5], 0x0
	v_mul_lo_u16 v1, v1, 13
	s_load_dwordx2 s[4:5], s[4:5], 0x38
	v_sub_nc_u16 v6, v0, v1
	v_and_b32_e32 v28, 0xffff, v6
	v_mul_lo_u16 v6, v6, 13
	v_lshlrev_b32_e32 v15, 2, v28
	s_waitcnt lgkmcnt(0)
	s_load_dwordx4 s[16:19], s[8:9], 0x0
	s_add_u32 s6, s0, 0x2a4
	s_addc_u32 s7, s1, 0
	global_load_dword v31, v15, s[0:1]
	s_waitcnt lgkmcnt(0)
	v_mad_u64_u32 v[0:1], null, s18, v12, 0
	v_mad_u64_u32 v[2:3], null, s16, v28, 0
	s_mul_i32 s8, s17, 52
	s_mul_hi_u32 s9, s16, 52
	s_mul_i32 s12, s16, 52
	s_add_i32 s9, s9, s8
	v_mad_u64_u32 v[4:5], null, s19, v12, v[1:2]
	v_mad_u64_u32 v[7:8], null, s17, v28, v[3:4]
	v_mov_b32_e32 v1, v4
	v_lshlrev_b64 v[0:1], 2, v[0:1]
	v_mov_b32_e32 v3, v7
	v_add_co_u32 v0, vcc_lo, s14, v0
	v_lshlrev_b64 v[2:3], 2, v[2:3]
	v_add_co_ci_u32_e32 v1, vcc_lo, s15, v1, vcc_lo
	v_add_co_u32 v0, vcc_lo, v0, v2
	v_add_co_ci_u32_e32 v1, vcc_lo, v1, v3, vcc_lo
	v_add_co_u32 v2, vcc_lo, v0, s12
	v_add_co_ci_u32_e32 v3, vcc_lo, s9, v1, vcc_lo
	s_clause 0x1
	global_load_dword v4, v[0:1], off
	global_load_dword v5, v[2:3], off
	v_add_co_u32 v0, vcc_lo, v2, s12
	v_add_co_ci_u32_e32 v1, vcc_lo, s9, v3, vcc_lo
	v_add_co_u32 v2, vcc_lo, v0, s12
	v_add_co_ci_u32_e32 v3, vcc_lo, s9, v1, vcc_lo
	s_clause 0x1
	global_load_dword v30, v15, s[0:1] offset:52
	global_load_dword v29, v15, s[0:1] offset:104
	s_clause 0x1
	global_load_dword v7, v[0:1], off
	global_load_dword v8, v[2:3], off
	v_add_co_u32 v0, vcc_lo, v2, s12
	v_add_co_ci_u32_e32 v1, vcc_lo, s9, v3, vcc_lo
	s_clause 0x1
	global_load_dword v27, v15, s[0:1] offset:156
	global_load_dword v26, v15, s[0:1] offset:208
	v_add_co_u32 v2, vcc_lo, v0, s12
	v_add_co_ci_u32_e32 v3, vcc_lo, s9, v1, vcc_lo
	global_load_dword v9, v[0:1], off
	v_add_co_u32 v0, vcc_lo, v2, s12
	v_add_co_ci_u32_e32 v1, vcc_lo, s9, v3, vcc_lo
	global_load_dword v10, v[2:3], off
	s_clause 0x2
	global_load_dword v25, v15, s[0:1] offset:260
	global_load_dword v24, v15, s[0:1] offset:312
	;; [unrolled: 1-line block ×3, first 2 shown]
	global_load_dword v11, v[0:1], off
	v_add_co_u32 v0, vcc_lo, v0, s12
	v_add_co_ci_u32_e32 v1, vcc_lo, s9, v1, vcc_lo
	s_clause 0x1
	global_load_dword v22, v15, s[0:1] offset:416
	global_load_dword v21, v15, s[0:1] offset:468
	v_add_co_u32 v2, vcc_lo, v0, s12
	v_add_co_ci_u32_e32 v3, vcc_lo, s9, v1, vcc_lo
	global_load_dword v13, v[0:1], off
	v_add_co_u32 v0, vcc_lo, v2, s12
	v_add_co_ci_u32_e32 v1, vcc_lo, s9, v3, vcc_lo
	global_load_dword v14, v[2:3], off
	v_add_co_u32 v2, vcc_lo, v0, s12
	v_add_co_ci_u32_e32 v3, vcc_lo, s9, v1, vcc_lo
	global_load_dword v16, v[0:1], off
	v_add_co_u32 v0, vcc_lo, v2, s12
	v_add_co_ci_u32_e32 v1, vcc_lo, s9, v3, vcc_lo
	global_load_dword v32, v[2:3], off
	v_add_co_u32 v2, vcc_lo, v0, s12
	v_add_co_ci_u32_e32 v3, vcc_lo, s9, v1, vcc_lo
	global_load_dword v20, v15, s[0:1] offset:520
	global_load_dword v0, v[0:1], off
	global_load_dword v1, v[2:3], off
	s_clause 0x1
	global_load_dword v18, v15, s[0:1] offset:572
	global_load_dword v17, v15, s[0:1] offset:624
	v_mul_hi_u32 v2, 0xaf286bcb, v12
	s_load_dwordx4 s[8:11], s[10:11], 0x0
	v_sub_nc_u32_e32 v3, v12, v2
	v_lshrrev_b32_e32 v3, 1, v3
	v_add_nc_u32_e32 v2, v3, v2
	v_lshrrev_b32_e32 v2, 4, v2
	v_mul_lo_u32 v2, v2, 19
	v_sub_nc_u32_e32 v2, v12, v2
	v_mul_u32_u24_e32 v2, 0xa9, v2
	v_lshlrev_b32_e32 v33, 2, v2
	v_add_nc_u32_e32 v19, v15, v33
	s_waitcnt vmcnt(24)
	v_lshrrev_b32_e32 v3, 16, v4
	v_mul_f16_sdwa v2, v31, v4 dst_sel:DWORD dst_unused:UNUSED_PAD src0_sel:WORD_1 src1_sel:DWORD
	s_waitcnt vmcnt(23)
	v_lshrrev_b32_e32 v35, 16, v5
	v_mul_f16_sdwa v34, v31, v3 dst_sel:DWORD dst_unused:UNUSED_PAD src0_sel:WORD_1 src1_sel:DWORD
	v_fma_f16 v2, v31, v3, -v2
	s_waitcnt vmcnt(22)
	v_mul_f16_sdwa v36, v30, v5 dst_sel:DWORD dst_unused:UNUSED_PAD src0_sel:WORD_1 src1_sel:DWORD
	v_fmac_f16_e32 v34, v31, v4
	v_mul_f16_sdwa v3, v30, v35 dst_sel:DWORD dst_unused:UNUSED_PAD src0_sel:WORD_1 src1_sel:DWORD
	s_waitcnt vmcnt(20)
	v_lshrrev_b32_e32 v4, 16, v7
	v_fma_f16 v35, v30, v35, -v36
	v_mul_f16_sdwa v36, v29, v7 dst_sel:DWORD dst_unused:UNUSED_PAD src0_sel:WORD_1 src1_sel:DWORD
	v_pack_b32_f16 v2, v34, v2
	v_fmac_f16_e32 v3, v30, v5
	v_mul_f16_sdwa v5, v29, v4 dst_sel:DWORD dst_unused:UNUSED_PAD src0_sel:WORD_1 src1_sel:DWORD
	s_waitcnt vmcnt(19)
	v_lshrrev_b32_e32 v34, 16, v8
	s_waitcnt vmcnt(18)
	v_mul_f16_sdwa v37, v27, v8 dst_sel:DWORD dst_unused:UNUSED_PAD src0_sel:WORD_1 src1_sel:DWORD
	v_fma_f16 v4, v29, v4, -v36
	v_pack_b32_f16 v3, v3, v35
	v_fmac_f16_e32 v5, v29, v7
	v_mul_f16_sdwa v7, v27, v34 dst_sel:DWORD dst_unused:UNUSED_PAD src0_sel:WORD_1 src1_sel:DWORD
	s_waitcnt vmcnt(16)
	v_lshrrev_b32_e32 v35, 16, v9
	v_fma_f16 v34, v27, v34, -v37
	v_mul_f16_sdwa v36, v26, v9 dst_sel:DWORD dst_unused:UNUSED_PAD src0_sel:WORD_1 src1_sel:DWORD
	ds_write2_b32 v19, v2, v3 offset1:13
	v_pack_b32_f16 v2, v5, v4
	v_fmac_f16_e32 v7, v27, v8
	v_mul_f16_sdwa v3, v26, v35 dst_sel:DWORD dst_unused:UNUSED_PAD src0_sel:WORD_1 src1_sel:DWORD
	s_waitcnt vmcnt(15)
	v_lshrrev_b32_e32 v4, 16, v10
	s_waitcnt vmcnt(14)
	v_mul_f16_sdwa v5, v25, v10 dst_sel:DWORD dst_unused:UNUSED_PAD src0_sel:WORD_1 src1_sel:DWORD
	v_fma_f16 v8, v26, v35, -v36
	v_pack_b32_f16 v7, v7, v34
	v_fmac_f16_e32 v3, v26, v9
	v_mul_f16_sdwa v9, v25, v4 dst_sel:DWORD dst_unused:UNUSED_PAD src0_sel:WORD_1 src1_sel:DWORD
	v_fma_f16 v4, v25, v4, -v5
	s_waitcnt vmcnt(11)
	v_lshrrev_b32_e32 v5, 16, v11
	v_mul_f16_sdwa v34, v24, v11 dst_sel:DWORD dst_unused:UNUSED_PAD src0_sel:WORD_1 src1_sel:DWORD
	ds_write2_b32 v19, v2, v7 offset0:26 offset1:39
	v_pack_b32_f16 v2, v3, v8
	v_fmac_f16_e32 v9, v25, v10
	v_mul_f16_sdwa v3, v24, v5 dst_sel:DWORD dst_unused:UNUSED_PAD src0_sel:WORD_1 src1_sel:DWORD
	s_waitcnt vmcnt(8)
	v_lshrrev_b32_e32 v7, 16, v13
	v_mul_f16_sdwa v8, v23, v13 dst_sel:DWORD dst_unused:UNUSED_PAD src0_sel:WORD_1 src1_sel:DWORD
	v_fma_f16 v5, v24, v5, -v34
	v_pack_b32_f16 v4, v9, v4
	v_fmac_f16_e32 v3, v24, v11
	v_mul_f16_sdwa v9, v23, v7 dst_sel:DWORD dst_unused:UNUSED_PAD src0_sel:WORD_1 src1_sel:DWORD
	v_fma_f16 v7, v23, v7, -v8
	s_waitcnt vmcnt(7)
	v_lshrrev_b32_e32 v8, 16, v14
	v_mul_f16_sdwa v10, v22, v14 dst_sel:DWORD dst_unused:UNUSED_PAD src0_sel:WORD_1 src1_sel:DWORD
	v_pack_b32_f16 v3, v3, v5
	v_fmac_f16_e32 v9, v23, v13
	s_waitcnt vmcnt(6)
	v_lshrrev_b32_e32 v5, 16, v16
	v_mul_f16_sdwa v11, v22, v8 dst_sel:DWORD dst_unused:UNUSED_PAD src0_sel:WORD_1 src1_sel:DWORD
	v_fma_f16 v8, v22, v8, -v10
	v_mul_f16_sdwa v10, v21, v16 dst_sel:DWORD dst_unused:UNUSED_PAD src0_sel:WORD_1 src1_sel:DWORD
	v_pack_b32_f16 v7, v9, v7
	v_mul_f16_sdwa v9, v21, v5 dst_sel:DWORD dst_unused:UNUSED_PAD src0_sel:WORD_1 src1_sel:DWORD
	v_fmac_f16_e32 v11, v22, v14
	s_waitcnt vmcnt(5)
	v_lshrrev_b32_e32 v13, 16, v32
	v_fma_f16 v5, v21, v5, -v10
	s_waitcnt vmcnt(4)
	v_mul_f16_sdwa v10, v20, v32 dst_sel:DWORD dst_unused:UNUSED_PAD src0_sel:WORD_1 src1_sel:DWORD
	s_waitcnt vmcnt(3)
	v_lshrrev_b32_e32 v14, 16, v0
	s_waitcnt vmcnt(2)
	v_lshrrev_b32_e32 v34, 16, v1
	v_fmac_f16_e32 v9, v21, v16
	v_mul_f16_sdwa v16, v20, v13 dst_sel:DWORD dst_unused:UNUSED_PAD src0_sel:WORD_1 src1_sel:DWORD
	v_fma_f16 v10, v20, v13, -v10
	s_waitcnt vmcnt(1)
	v_mul_f16_sdwa v13, v18, v0 dst_sel:DWORD dst_unused:UNUSED_PAD src0_sel:WORD_1 src1_sel:DWORD
	v_mul_f16_sdwa v35, v18, v14 dst_sel:DWORD dst_unused:UNUSED_PAD src0_sel:WORD_1 src1_sel:DWORD
	s_waitcnt vmcnt(0)
	v_mul_f16_sdwa v36, v17, v1 dst_sel:DWORD dst_unused:UNUSED_PAD src0_sel:WORD_1 src1_sel:DWORD
	v_mul_f16_sdwa v37, v17, v34 dst_sel:DWORD dst_unused:UNUSED_PAD src0_sel:WORD_1 src1_sel:DWORD
	v_fmac_f16_e32 v16, v20, v32
	v_fma_f16 v13, v18, v14, -v13
	v_fmac_f16_e32 v35, v18, v0
	v_fma_f16 v0, v17, v34, -v36
	v_fmac_f16_e32 v37, v17, v1
	v_pack_b32_f16 v1, v11, v8
	v_pack_b32_f16 v5, v9, v5
	;; [unrolled: 1-line block ×5, first 2 shown]
	ds_write2_b32 v19, v2, v4 offset0:52 offset1:65
	ds_write2_b32 v19, v3, v7 offset0:78 offset1:91
	;; [unrolled: 1-line block ×4, first 2 shown]
	ds_write_b32 v19, v0 offset:624
	s_waitcnt lgkmcnt(0)
	s_barrier
	buffer_gl0_inv
	ds_read2_b32 v[2:3], v19 offset1:13
	ds_read_b32 v8, v19 offset:624
	ds_read2_b32 v[4:5], v19 offset0:52 offset1:65
	ds_read2_b32 v[0:1], v19 offset0:104 offset1:117
	v_and_b32_e32 v9, 0xffff, v6
	ds_read2_b32 v[38:39], v19 offset0:26 offset1:39
	ds_read2_b32 v[6:7], v19 offset0:130 offset1:143
	v_lshl_add_u32 v32, v9, 2, v33
	s_waitcnt lgkmcnt(5)
	v_add_f16_e32 v11, v3, v2
	s_waitcnt lgkmcnt(4)
	v_add_f16_e32 v40, v8, v3
	v_add_f16_sdwa v41, v8, v3 dst_sel:DWORD dst_unused:UNUSED_PAD src0_sel:WORD_1 src1_sel:WORD_1
	v_sub_f16_e32 v9, v3, v8
	v_sub_f16_sdwa v10, v3, v8 dst_sel:DWORD dst_unused:UNUSED_PAD src0_sel:WORD_1 src1_sel:WORD_1
	v_add_f16_sdwa v3, v3, v2 dst_sel:DWORD dst_unused:UNUSED_PAD src0_sel:WORD_1 src1_sel:WORD_1
	s_waitcnt lgkmcnt(2)
	v_add_f16_e32 v42, v1, v4
	v_sub_f16_e32 v44, v4, v1
	v_sub_f16_sdwa v45, v4, v1 dst_sel:DWORD dst_unused:UNUSED_PAD src0_sel:WORD_1 src1_sel:WORD_1
	v_add_f16_e32 v46, v0, v5
	v_sub_f16_e32 v48, v5, v0
	v_sub_f16_sdwa v49, v5, v0 dst_sel:DWORD dst_unused:UNUSED_PAD src0_sel:WORD_1 src1_sel:WORD_1
	s_waitcnt lgkmcnt(0)
	v_add_f16_e32 v50, v7, v38
	v_add_f16_sdwa v51, v7, v38 dst_sel:DWORD dst_unused:UNUSED_PAD src0_sel:WORD_1 src1_sel:WORD_1
	v_sub_f16_e32 v13, v38, v7
	v_sub_f16_sdwa v14, v38, v7 dst_sel:DWORD dst_unused:UNUSED_PAD src0_sel:WORD_1 src1_sel:WORD_1
	v_add_f16_e32 v52, v6, v39
	v_add_f16_sdwa v53, v6, v39 dst_sel:DWORD dst_unused:UNUSED_PAD src0_sel:WORD_1 src1_sel:WORD_1
	v_sub_f16_e32 v34, v39, v6
	v_sub_f16_sdwa v35, v39, v6 dst_sel:DWORD dst_unused:UNUSED_PAD src0_sel:WORD_1 src1_sel:WORD_1
	v_add_f16_e32 v64, v11, v38
	v_add_f16_sdwa v65, v3, v38 dst_sel:DWORD dst_unused:UNUSED_PAD src0_sel:DWORD src1_sel:WORD_1
	v_add_f16_sdwa v43, v1, v4 dst_sel:DWORD dst_unused:UNUSED_PAD src0_sel:WORD_1 src1_sel:WORD_1
	v_add_f16_sdwa v47, v0, v5 dst_sel:DWORD dst_unused:UNUSED_PAD src0_sel:WORD_1 src1_sel:WORD_1
	v_mul_f16_e32 v54, 0xb770, v10
	v_mul_f16_e32 v55, 0xb770, v9
	;; [unrolled: 1-line block ×10, first 2 shown]
	v_pack_b32_f16 v66, v41, v10
	v_pack_b32_f16 v67, v9, v40
	v_mul_f16_e32 v68, 0xba95, v14
	v_mul_f16_e32 v69, 0xbb7b, v14
	v_mul_f16_e32 v10, 0xb3a8, v14
	v_mul_f16_e32 v9, 0x394e, v14
	v_mul_f16_e32 v3, 0x3bf1, v14
	v_pack_b32_f16 v70, v13, v50
	v_mul_f16_e32 v71, 0xba95, v13
	v_mul_f16_e32 v72, 0xbb7b, v13
	v_mul_f16_e32 v73, 0xb3a8, v13
	v_mul_f16_e32 v74, 0x394e, v13
	v_mul_f16_e32 v75, 0x3bf1, v13
	;; [unrolled: 6-line block ×6, first 2 shown]
	v_mul_f16_e32 v89, 0xb94e, v49
	v_mul_f16_e32 v90, 0x3bf1, v49
	;; [unrolled: 1-line block ×5, first 2 shown]
	v_pack_b32_f16 v94, v48, v46
	v_mul_f16_e32 v95, 0xb94e, v48
	v_mul_f16_e32 v96, 0x3bf1, v48
	;; [unrolled: 1-line block ×5, first 2 shown]
	v_add_f16_e32 v64, v64, v39
	v_add_f16_sdwa v39, v65, v39 dst_sel:DWORD dst_unused:UNUSED_PAD src0_sel:DWORD src1_sel:WORD_1
	v_pack_b32_f16 v45, v43, v45
	v_pack_b32_f16 v49, v47, v49
	v_fma_f16 v99, v40, 0x3b15, -v54
	v_fmamk_f16 v100, v41, 0x3b15, v55
	v_fmac_f16_e32 v54, 0x3b15, v40
	v_fma_f16 v55, v41, 0x3b15, -v55
	v_fma_f16 v101, v40, 0x388b, -v56
	v_fmamk_f16 v102, v41, 0x388b, v57
	v_fmac_f16_e32 v56, 0x388b, v40
	v_fma_f16 v57, v41, 0x388b, -v57
	;; [unrolled: 4-line block ×4, first 2 shown]
	v_fma_f16 v106, v40, 0xb9fd, -v62
	v_fmac_f16_e32 v62, 0xb9fd, v40
	v_fmamk_f16 v40, v41, 0xb9fd, v63
	v_fma_f16 v41, v41, 0xb9fd, -v63
	v_fma_f16 v63, v50, 0x388b, -v68
	v_fmac_f16_e32 v68, 0x388b, v50
	v_fma_f16 v107, v50, 0xb5ac, -v69
	v_fmac_f16_e32 v69, 0xb5ac, v50
	v_fma_f16 v108, v50, 0xbbc4, -v10
	v_fmac_f16_e32 v10, 0xbbc4, v50
	v_fma_f16 v109, v50, 0xb9fd, -v9
	v_fmac_f16_e32 v9, 0xb9fd, v50
	v_fma_f16 v110, v50, 0x2fb7, -v3
	v_fmac_f16_e32 v3, 0x2fb7, v50
	v_fmamk_f16 v50, v51, 0x388b, v71
	v_fma_f16 v71, v51, 0x388b, -v71
	v_fmamk_f16 v111, v51, 0xb5ac, v72
	v_fma_f16 v72, v51, 0xb5ac, -v72
	v_fmamk_f16 v112, v51, 0xbbc4, v73
	v_fma_f16 v73, v51, 0xbbc4, -v73
	v_fmamk_f16 v113, v51, 0xb9fd, v74
	v_fma_f16 v74, v51, 0xb9fd, -v74
	v_fmamk_f16 v114, v51, 0x2fb7, v75
	v_fma_f16 v51, v51, 0x2fb7, -v75
	v_fma_f16 v75, v52, 0x2fb7, -v33
	v_fmac_f16_e32 v33, 0x2fb7, v52
	v_fma_f16 v115, v52, 0xbbc4, -v16
	v_fmac_f16_e32 v16, 0xbbc4, v52
	v_fma_f16 v116, v52, 0xb5ac, -v14
	v_fmac_f16_e32 v14, 0xb5ac, v52
	v_fma_f16 v117, v52, 0x3b15, -v13
	v_fmac_f16_e32 v13, 0x3b15, v52
	v_fma_f16 v118, v52, 0x388b, -v11
	v_fmac_f16_e32 v11, 0x388b, v52
	v_fmamk_f16 v52, v53, 0x2fb7, v78
	v_fma_f16 v78, v53, 0x2fb7, -v78
	v_fmamk_f16 v119, v53, 0xbbc4, v79
	v_fma_f16 v79, v53, 0xbbc4, -v79
	v_fmamk_f16 v120, v53, 0xb5ac, v80
	v_fma_f16 v80, v53, 0xb5ac, -v80
	v_fmamk_f16 v121, v53, 0x3b15, v81
	v_fma_f16 v81, v53, 0x3b15, -v81
	;; [unrolled: 20-line block ×4, first 2 shown]
	v_fmamk_f16 v138, v47, 0x3b15, v48
	v_fma_f16 v47, v47, 0x3b15, -v48
	v_add_f16_e32 v48, v64, v4
	v_add_f16_sdwa v4, v39, v4 dst_sel:DWORD dst_unused:UNUSED_PAD src0_sel:DWORD src1_sel:WORD_1
	v_pk_mul_f16 v39, 0xbbc4b3a8, v67
	v_pk_mul_f16 v64, 0x3b153770, v70
	v_add_f16_e32 v60, v60, v2
	v_add_f16_e32 v48, v48, v5
	v_add_f16_sdwa v67, v4, v5 dst_sel:DWORD dst_unused:UNUSED_PAD src0_sel:DWORD src1_sel:WORD_1
	v_pk_fma_f16 v4, 0xb3a8bbc4, v66, v39 neg_lo:[0,1,0] neg_hi:[0,1,0]
	v_pk_fma_f16 v5, 0xb3a8bbc4, v66, v39
	v_pk_fma_f16 v39, 0xb3a8bbc4, v66, v39 neg_lo:[0,0,1] neg_hi:[0,0,1]
	v_pk_fma_f16 v66, 0x37703b15, v76, v64 neg_lo:[0,1,0] neg_hi:[0,1,0]
	v_pk_fma_f16 v70, 0x37703b15, v76, v64
	v_pk_fma_f16 v64, 0x37703b15, v76, v64 neg_lo:[0,0,1] neg_hi:[0,0,1]
	v_pk_mul_f16 v76, 0xb9fdb94e, v77
	v_pk_mul_f16 v77, 0x388b3a95, v84
	v_add_f16_e32 v84, v99, v2
	v_add_f16_sdwa v99, v100, v2 dst_sel:DWORD dst_unused:UNUSED_PAD src0_sel:DWORD src1_sel:WORD_1
	v_add_f16_e32 v100, v101, v2
	v_add_f16_sdwa v101, v102, v2 dst_sel:DWORD dst_unused:UNUSED_PAD src0_sel:DWORD src1_sel:WORD_1
	v_add_f16_sdwa v102, v103, v2 dst_sel:DWORD dst_unused:UNUSED_PAD src0_sel:DWORD src1_sel:WORD_1
	v_add_f16_e32 v103, v104, v2
	v_add_f16_sdwa v104, v105, v2 dst_sel:DWORD dst_unused:UNUSED_PAD src0_sel:DWORD src1_sel:WORD_1
	v_add_f16_e32 v105, v106, v2
	v_pk_add_f16 v106, v4, v2 op_sel:[0,1] op_sel_hi:[1,0]
	v_pk_add_f16 v139, v5, v2 op_sel:[0,1] op_sel_hi:[1,0]
	ds_read2_b32 v[4:5], v19 offset0:78 offset1:91
	v_add_f16_e32 v54, v54, v2
	v_add_f16_sdwa v55, v55, v2 dst_sel:DWORD dst_unused:UNUSED_PAD src0_sel:DWORD src1_sel:WORD_1
	v_add_f16_e32 v9, v9, v60
	v_add_f16_e32 v56, v56, v2
	v_add_f16_sdwa v57, v57, v2 dst_sel:DWORD dst_unused:UNUSED_PAD src0_sel:DWORD src1_sel:WORD_1
	v_add_f16_e32 v65, v65, v2
	v_add_f16_e32 v58, v58, v2
	v_add_f16_sdwa v59, v59, v2 dst_sel:DWORD dst_unused:UNUSED_PAD src0_sel:DWORD src1_sel:WORD_1
	v_add_f16_sdwa v61, v61, v2 dst_sel:DWORD dst_unused:UNUSED_PAD src0_sel:DWORD src1_sel:WORD_1
	;; [unrolled: 1-line block ×3, first 2 shown]
	v_add_f16_e32 v62, v62, v2
	v_add_f16_sdwa v41, v41, v2 dst_sel:DWORD dst_unused:UNUSED_PAD src0_sel:DWORD src1_sel:WORD_1
	v_pk_add_f16 v2, v39, v2 op_sel:[0,1] op_sel_hi:[1,0]
	v_pk_fma_f16 v39, 0xb94eb9fd, v83, v76 neg_lo:[0,1,0] neg_hi:[0,1,0]
	v_pk_fma_f16 v140, 0xb94eb9fd, v83, v76
	v_pk_fma_f16 v76, 0xb94eb9fd, v83, v76 neg_lo:[0,0,1] neg_hi:[0,0,1]
	v_pk_fma_f16 v83, 0x3a95388b, v45, v77 neg_lo:[0,1,0] neg_hi:[0,1,0]
	v_pk_fma_f16 v141, 0x3a95388b, v45, v77
	v_pk_fma_f16 v45, 0x3a95388b, v45, v77 neg_lo:[0,0,1] neg_hi:[0,0,1]
	v_add_f16_e32 v63, v63, v84
	v_add_f16_e32 v54, v68, v54
	s_waitcnt lgkmcnt(0)
	v_add_f16_e32 v68, v5, v4
	v_add_f16_e32 v55, v71, v55
	v_sub_f16_sdwa v71, v4, v5 dst_sel:DWORD dst_unused:UNUSED_PAD src0_sel:WORD_1 src1_sel:WORD_1
	v_add_f16_e32 v77, v107, v100
	v_sub_f16_e32 v84, v4, v5
	v_add_f16_sdwa v100, v5, v4 dst_sel:DWORD dst_unused:UNUSED_PAD src0_sel:WORD_1 src1_sel:WORD_1
	v_add_f16_e32 v9, v13, v9
	v_add_f16_e32 v13, v48, v4
	v_add_f16_sdwa v4, v67, v4 dst_sel:DWORD dst_unused:UNUSED_PAD src0_sel:DWORD src1_sel:WORD_1
	v_add_f16_e32 v50, v50, v99
	v_add_f16_e32 v102, v112, v102
	;; [unrolled: 1-line block ×4, first 2 shown]
	v_add_f16_sdwa v4, v4, v5 dst_sel:DWORD dst_unused:UNUSED_PAD src0_sel:DWORD src1_sel:WORD_1
	v_add_f16_e32 v41, v51, v41
	v_pk_add_f16 v51, v66, v106
	v_pk_add_f16 v62, v70, v139
	v_add_f16_e32 v13, v13, v0
	v_add_f16_sdwa v0, v4, v0 dst_sel:DWORD dst_unused:UNUSED_PAD src0_sel:DWORD src1_sel:WORD_1
	v_pk_add_f16 v2, v64, v2
	v_add_f16_e32 v63, v75, v63
	v_add_f16_e32 v50, v52, v50
	;; [unrolled: 1-line block ×3, first 2 shown]
	v_add_f16_sdwa v0, v0, v1 dst_sel:DWORD dst_unused:UNUSED_PAD src0_sel:DWORD src1_sel:WORD_1
	v_add_f16_e32 v61, v74, v61
	v_add_f16_e32 v74, v110, v105
	;; [unrolled: 1-line block ×4, first 2 shown]
	v_add_f16_sdwa v0, v0, v6 dst_sel:DWORD dst_unused:UNUSED_PAD src0_sel:DWORD src1_sel:WORD_1
	v_add_f16_e32 v56, v69, v56
	v_add_f16_e32 v57, v72, v57
	;; [unrolled: 1-line block ×5, first 2 shown]
	v_pk_mul_f16 v94, 0xb5acbb7b, v94
	v_add_f16_e32 v103, v109, v103
	v_add_f16_e32 v64, v120, v102
	;; [unrolled: 1-line block ×4, first 2 shown]
	v_pk_add_f16 v5, v39, v51
	v_pk_add_f16 v39, v140, v62
	;; [unrolled: 1-line block ×3, first 2 shown]
	v_add_f16_e32 v41, v82, v63
	v_add_f16_e32 v42, v42, v50
	;; [unrolled: 1-line block ×3, first 2 shown]
	v_add_f16_sdwa v0, v0, v7 dst_sel:DWORD dst_unused:UNUSED_PAD src0_sel:DWORD src1_sel:WORD_1
	v_add_f16_e32 v104, v113, v104
	v_add_f16_e32 v48, v81, v61
	;; [unrolled: 1-line block ×17, first 2 shown]
	v_pk_add_f16 v4, v83, v5
	v_pk_add_f16 v5, v141, v39
	;; [unrolled: 1-line block ×3, first 2 shown]
	v_add_f16_e32 v34, v44, v41
	v_add_f16_e32 v39, v46, v42
	;; [unrolled: 1-line block ×3, first 2 shown]
	v_add_f16_sdwa v0, v0, v8 dst_sel:WORD_1 dst_unused:UNUSED_PAD src0_sel:DWORD src1_sel:WORD_1
	v_pk_fma_f16 v43, 0xbb7bb5ac, v49, v94
	v_mul_f16_e32 v44, 0xb94e, v84
	v_pk_fma_f16 v46, 0xbb7bb5ac, v49, v94 neg_lo:[0,0,1] neg_hi:[0,0,1]
	v_add_f16_e32 v65, v121, v104
	v_add_f16_e32 v9, v35, v9
	;; [unrolled: 1-line block ×9, first 2 shown]
	v_mul_f16_e32 v69, 0xb3a8, v71
	v_mul_f16_e32 v72, 0xb3a8, v84
	;; [unrolled: 1-line block ×4, first 2 shown]
	v_add_f16_e32 v50, v123, v54
	v_add_f16_e32 v10, v36, v10
	;; [unrolled: 1-line block ×5, first 2 shown]
	v_or_b32_sdwa v0, v0, v13 dst_sel:DWORD dst_unused:UNUSED_PAD src0_sel:DWORD src1_sel:WORD_0
	v_mul_f16_e32 v13, 0xb94e, v71
	v_pk_add_f16 v5, v43, v5
	v_fmamk_f16 v43, v100, 0xb9fd, v44
	v_pk_add_f16 v2, v46, v2
	v_mul_f16_e32 v46, 0x3a95, v71
	v_add_f16_e32 v54, v129, v65
	v_add_f16_e32 v8, v92, v9
	;; [unrolled: 1-line block ×4, first 2 shown]
	v_mul_f16_e32 v48, 0x3a95, v84
	v_add_f16_e32 v40, v130, v40
	v_add_f16_e32 v1, v135, v51
	;; [unrolled: 1-line block ×3, first 2 shown]
	v_mul_f16_e32 v51, 0xbb7b, v71
	v_mul_f16_e32 v52, 0xbb7b, v84
	v_fma_f16 v58, v68, 0xbbc4, -v69
	v_fmamk_f16 v73, v100, 0xbbc4, v72
	v_fma_f16 v108, v68, 0x3b15, -v101
	v_fmamk_f16 v109, v100, 0x3b15, v107
	v_pk_fma_f16 v60, 0xbb7bb5ac, v49, v94 neg_lo:[0,1,0] neg_hi:[0,1,0]
	v_add_f16_e32 v16, v37, v16
	v_add_f16_e32 v37, v86, v56
	;; [unrolled: 1-line block ×7, first 2 shown]
	v_fma_f16 v47, v68, 0xb9fd, -v13
	v_fmac_f16_e32 v13, 0xb9fd, v68
	v_fma_f16 v49, v68, 0x388b, -v46
	v_add_f16_e32 v42, v43, v42
	v_pack_b32_f16 v43, v84, v68
	v_add_f16_e32 v36, v137, v54
	v_fmamk_f16 v50, v100, 0x388b, v48
	v_add_f16_e32 v40, v138, v40
	v_fma_f16 v53, v68, 0xb5ac, -v51
	v_fmamk_f16 v54, v100, 0xb5ac, v52
	v_add_f16_e32 v37, v96, v37
	v_fma_f16 v45, v100, 0x3b15, -v107
	v_add_f16_e32 v34, v58, v34
	v_fma_f16 v44, v100, 0xb9fd, -v44
	v_add_f16_e32 v39, v73, v39
	v_add_f16_e32 v41, v108, v41
	;; [unrolled: 1-line block ×5, first 2 shown]
	v_pack_b32_f16 v14, v100, v71
	v_pk_mul_f16 v43, 0x2fb73bf1, v43
	v_add_f16_e32 v6, v47, v6
	v_add_f16_e32 v36, v50, v36
	v_add_f16_e32 v35, v53, v35
	v_add_f16_e32 v40, v54, v40
	v_fmac_f16_e32 v69, 0xbbc4, v68
	v_fma_f16 v72, v100, 0xbbc4, -v72
	v_add_f16_e32 v33, v89, v33
	v_add_f16_e32 v38, v95, v38
	v_pk_add_f16 v4, v60, v4
	v_fmac_f16_e32 v46, 0x388b, v68
	v_fma_f16 v48, v100, 0x388b, -v48
	v_add_f16_e32 v37, v45, v37
	v_add_f16_e32 v7, v44, v7
	v_pk_fma_f16 v44, 0x3bf12fb7, v14, v43
	v_pk_fma_f16 v45, 0x3bf12fb7, v14, v43 neg_lo:[0,1,0] neg_hi:[0,1,0]
	v_pk_fma_f16 v14, 0x3bf12fb7, v14, v43 neg_lo:[0,0,1] neg_hi:[0,0,1]
	v_pack_b32_f16 v1, v41, v1
	v_pack_b32_f16 v34, v34, v39
	v_add_f16_e32 v3, v93, v3
	v_fmac_f16_e32 v51, 0xb5ac, v68
	v_fma_f16 v52, v100, 0xb5ac, -v52
	v_pack_b32_f16 v13, v13, v36
	v_pack_b32_f16 v6, v6, v42
	v_add_f16_e32 v16, v90, v16
	v_fmac_f16_e32 v101, 0x3b15, v68
	v_pack_b32_f16 v35, v35, v40
	v_add_f16_e32 v33, v69, v33
	v_add_f16_e32 v38, v72, v38
	s_barrier
	buffer_gl0_inv
	v_add_f16_e32 v8, v46, v8
	v_add_f16_e32 v9, v48, v9
	v_pk_add_f16 v5, v44, v5
	v_pk_add_f16 v2, v14, v2
	;; [unrolled: 1-line block ×3, first 2 shown]
	ds_write2_b32 v32, v34, v1 offset0:1 offset1:2
	ds_write2_b32 v32, v6, v13 offset0:3 offset1:4
	ds_write2_b32 v32, v0, v35 offset1:5
	v_mul_u32_u24_e32 v6, 12, v28
	v_add_f16_e32 v3, v51, v3
	v_add_f16_e32 v11, v52, v11
	;; [unrolled: 1-line block ×3, first 2 shown]
	v_alignbit_b32 v0, v2, v5, 16
	v_alignbit_b32 v1, v5, v4, 16
	v_pack_b32_f16 v2, v8, v9
	v_pack_b32_f16 v5, v10, v7
	;; [unrolled: 1-line block ×3, first 2 shown]
	v_lshlrev_b32_e32 v8, 2, v6
	v_pack_b32_f16 v3, v3, v11
	v_pack_b32_f16 v4, v16, v37
	ds_write2_b32 v32, v1, v0 offset0:6 offset1:7
	ds_write2_b32 v32, v3, v2 offset0:8 offset1:9
	ds_write2_b32 v32, v5, v4 offset0:10 offset1:11
	ds_write_b32 v32, v7 offset:48
	s_waitcnt lgkmcnt(0)
	s_barrier
	buffer_gl0_inv
	s_clause 0x2
	global_load_dwordx4 v[4:7], v8, s[2:3]
	global_load_dwordx4 v[0:3], v8, s[2:3] offset:32
	global_load_dwordx4 v[8:11], v8, s[2:3] offset:16
	ds_read2_b32 v[13:14], v19 offset1:13
	ds_read_b32 v34, v19 offset:624
	ds_read2_b32 v[37:38], v19 offset0:26 offset1:39
	ds_read2_b32 v[44:45], v19 offset0:52 offset1:65
	;; [unrolled: 1-line block ×5, first 2 shown]
	s_mov_b32 s2, 0x7ab2bedd
	s_mov_b32 s3, 0x3f783c97
	s_waitcnt lgkmcnt(6)
	v_lshrrev_b32_e32 v41, 16, v14
	s_waitcnt lgkmcnt(5)
	v_lshrrev_b32_e32 v46, 16, v34
	;; [unrolled: 2-line block ×4, first 2 shown]
	v_lshrrev_b32_e32 v60, 16, v45
	v_lshrrev_b32_e32 v58, 16, v38
	s_waitcnt lgkmcnt(0)
	v_lshrrev_b32_e32 v65, 16, v55
	v_lshrrev_b32_e32 v66, 16, v56
	;; [unrolled: 1-line block ×6, first 2 shown]
	s_waitcnt vmcnt(2)
	v_mul_f16_sdwa v48, v41, v4 dst_sel:DWORD dst_unused:UNUSED_PAD src0_sel:DWORD src1_sel:WORD_1
	v_mul_f16_sdwa v67, v14, v4 dst_sel:DWORD dst_unused:UNUSED_PAD src0_sel:DWORD src1_sel:WORD_1
	;; [unrolled: 1-line block ×5, first 2 shown]
	s_waitcnt vmcnt(0)
	v_mul_f16_sdwa v72, v60, v8 dst_sel:DWORD dst_unused:UNUSED_PAD src0_sel:DWORD src1_sel:WORD_1
	v_mul_f16_sdwa v77, v65, v1 dst_sel:DWORD dst_unused:UNUSED_PAD src0_sel:DWORD src1_sel:WORD_1
	;; [unrolled: 1-line block ×3, first 2 shown]
	v_fma_f16 v79, v14, v4, -v48
	v_fmac_f16_e32 v67, v41, v4
	v_mul_f16_sdwa v50, v46, v3 dst_sel:DWORD dst_unused:UNUSED_PAD src0_sel:DWORD src1_sel:WORD_1
	v_mul_f16_sdwa v69, v58, v6 dst_sel:DWORD dst_unused:UNUSED_PAD src0_sel:DWORD src1_sel:WORD_1
	;; [unrolled: 1-line block ×7, first 2 shown]
	v_fma_f16 v68, v37, v5, -v68
	v_fma_f16 v48, v44, v7, -v71
	;; [unrolled: 1-line block ×5, first 2 shown]
	v_fmac_f16_e32 v70, v57, v5
	v_add_f16_e32 v55, v79, v13
	v_add_f16_sdwa v56, v67, v13 dst_sel:DWORD dst_unused:UNUSED_PAD src0_sel:DWORD src1_sel:WORD_1
	v_mul_f16_sdwa v39, v34, v3 dst_sel:DWORD dst_unused:UNUSED_PAD src0_sel:DWORD src1_sel:WORD_1
	v_mul_f16_sdwa v16, v51, v9 dst_sel:DWORD dst_unused:UNUSED_PAD src0_sel:DWORD src1_sel:WORD_1
	v_mul_f16_sdwa v33, v52, v10 dst_sel:DWORD dst_unused:UNUSED_PAD src0_sel:DWORD src1_sel:WORD_1
	v_mul_f16_sdwa v76, v64, v0 dst_sel:DWORD dst_unused:UNUSED_PAD src0_sel:DWORD src1_sel:WORD_1
	v_mul_f16_sdwa v36, v53, v11 dst_sel:DWORD dst_unused:UNUSED_PAD src0_sel:DWORD src1_sel:WORD_1
	v_mul_f16_sdwa v43, v54, v0 dst_sel:DWORD dst_unused:UNUSED_PAD src0_sel:DWORD src1_sel:WORD_1
	v_fma_f16 v41, v34, v3, -v50
	v_fma_f16 v50, v38, v6, -v69
	v_fmac_f16_e32 v49, v58, v6
	v_fmac_f16_e32 v42, v65, v1
	v_add_f16_e32 v55, v55, v68
	v_add_f16_e32 v56, v56, v70
	v_mul_f16_sdwa v73, v61, v9 dst_sel:DWORD dst_unused:UNUSED_PAD src0_sel:DWORD src1_sel:WORD_1
	v_mul_f16_sdwa v74, v62, v10 dst_sel:DWORD dst_unused:UNUSED_PAD src0_sel:DWORD src1_sel:WORD_1
	;; [unrolled: 1-line block ×3, first 2 shown]
	v_fmac_f16_e32 v39, v46, v3
	v_fma_f16 v46, v54, v0, -v76
	v_fmac_f16_e32 v47, v59, v7
	v_fmac_f16_e32 v16, v61, v9
	;; [unrolled: 1-line block ×5, first 2 shown]
	v_sub_f16_e32 v61, v49, v42
	v_add_f16_e32 v62, v50, v45
	v_sub_f16_e32 v63, v50, v45
	v_add_f16_e32 v64, v49, v42
	v_add_f16_e32 v50, v55, v50
	;; [unrolled: 1-line block ×3, first 2 shown]
	v_fma_f16 v14, v51, v9, -v73
	v_fmac_f16_e32 v35, v60, v8
	v_fmac_f16_e32 v40, v66, v2
	v_sub_f16_e32 v51, v67, v39
	v_add_f16_e32 v54, v67, v39
	v_sub_f16_e32 v65, v47, v43
	v_add_f16_e32 v66, v48, v46
	;; [unrolled: 2-line block ×3, first 2 shown]
	v_add_f16_e32 v48, v50, v48
	v_add_f16_e32 v47, v49, v47
	v_fma_f16 v34, v52, v10, -v74
	v_sub_f16_e32 v52, v79, v41
	v_fma_f16 v38, v53, v11, -v75
	v_add_f16_e32 v48, v48, v37
	v_add_f16_e32 v47, v47, v35
	;; [unrolled: 1-line block ×3, first 2 shown]
	v_sub_f16_e32 v57, v70, v40
	v_sub_f16_e32 v59, v68, v44
	v_mul_f16_e32 v71, 0xb770, v51
	v_mul_f16_e32 v72, 0xb770, v52
	v_add_f16_e32 v48, v48, v14
	v_add_f16_e32 v47, v47, v16
	;; [unrolled: 1-line block ×4, first 2 shown]
	v_mul_f16_e32 v73, 0xba95, v51
	v_mul_f16_e32 v74, 0xba95, v52
	;; [unrolled: 1-line block ×17, first 2 shown]
	v_fma_f16 v104, v53, 0x3b15, -v71
	v_fmamk_f16 v105, v54, 0x3b15, v72
	v_fma_f16 v72, v54, 0x3b15, -v72
	v_add_f16_e32 v48, v48, v34
	v_add_f16_e32 v47, v47, v33
	v_mul_f16_e32 v70, 0xbb7b, v59
	v_mul_f16_e32 v94, 0xbbf1, v63
	v_fmac_f16_e32 v71, 0x3b15, v53
	v_fma_f16 v106, v53, 0x388b, -v73
	v_fmamk_f16 v107, v54, 0x388b, v74
	v_fmac_f16_e32 v73, 0x388b, v53
	v_fma_f16 v74, v54, 0x388b, -v74
	v_fma_f16 v108, v53, 0x2fb7, -v75
	v_fmamk_f16 v109, v54, 0x2fb7, v76
	v_fmac_f16_e32 v75, 0x2fb7, v53
	v_fma_f16 v76, v54, 0x2fb7, -v76
	v_fma_f16 v110, v53, 0xb5ac, -v77
	v_fmac_f16_e32 v77, 0xb5ac, v53
	v_fma_f16 v111, v53, 0xb9fd, -v79
	v_fmac_f16_e32 v79, 0xb9fd, v53
	;; [unrolled: 2-line block ×3, first 2 shown]
	v_fmamk_f16 v53, v54, 0xb5ac, v78
	v_fma_f16 v78, v54, 0xb5ac, -v78
	v_fmamk_f16 v113, v54, 0xb9fd, v80
	v_fma_f16 v80, v54, 0xb9fd, -v80
	;; [unrolled: 2-line block ×3, first 2 shown]
	v_fma_f16 v54, v58, 0x388b, -v81
	v_fmac_f16_e32 v81, 0x388b, v58
	v_fma_f16 v115, v58, 0xb5ac, -v82
	v_fmac_f16_e32 v82, 0xb5ac, v58
	;; [unrolled: 2-line block ×6, first 2 shown]
	v_fmamk_f16 v58, v60, 0x388b, v68
	v_fma_f16 v68, v60, 0x388b, -v68
	v_add_f16_e32 v104, v104, v13
	v_add_f16_sdwa v72, v72, v13 dst_sel:DWORD dst_unused:UNUSED_PAD src0_sel:DWORD src1_sel:WORD_1
	v_add_f16_e32 v48, v48, v38
	v_add_f16_e32 v47, v47, v36
	v_mul_f16_e32 v86, 0xb3a8, v59
	v_mul_f16_e32 v87, 0x394e, v59
	;; [unrolled: 1-line block ×12, first 2 shown]
	v_fmamk_f16 v120, v60, 0xb5ac, v70
	v_fma_f16 v56, v64, 0x2fb7, -v94
	v_add_f16_sdwa v105, v105, v13 dst_sel:DWORD dst_unused:UNUSED_PAD src0_sel:DWORD src1_sel:WORD_1
	v_add_f16_e32 v106, v106, v13
	v_add_f16_sdwa v107, v107, v13 dst_sel:DWORD dst_unused:UNUSED_PAD src0_sel:DWORD src1_sel:WORD_1
	v_add_f16_e32 v49, v54, v104
	v_add_f16_e32 v54, v68, v72
	;; [unrolled: 1-line block ×4, first 2 shown]
	v_mul_f16_e32 v96, 0x3b7b, v63
	v_mul_f16_e32 v97, 0x3770, v63
	;; [unrolled: 1-line block ×7, first 2 shown]
	v_fma_f16 v70, v60, 0xb5ac, -v70
	v_fmamk_f16 v121, v60, 0xbbc4, v86
	v_fma_f16 v86, v60, 0xbbc4, -v86
	v_fmamk_f16 v122, v60, 0xb9fd, v87
	;; [unrolled: 2-line block ×4, first 2 shown]
	v_fma_f16 v59, v60, 0x3b15, -v59
	v_fma_f16 v60, v62, 0x2fb7, -v89
	v_fmac_f16_e32 v89, 0x2fb7, v62
	v_fma_f16 v125, v62, 0xbbc4, -v90
	v_fmac_f16_e32 v90, 0xbbc4, v62
	;; [unrolled: 2-line block ×6, first 2 shown]
	v_fmamk_f16 v55, v64, 0x2fb7, v94
	v_fmamk_f16 v62, v64, 0xbbc4, v95
	;; [unrolled: 1-line block ×3, first 2 shown]
	v_fma_f16 v100, v69, 0xb5ac, -v100
	v_add_f16_e32 v71, v71, v13
	v_add_f16_e32 v73, v73, v13
	v_add_f16_sdwa v74, v74, v13 dst_sel:DWORD dst_unused:UNUSED_PAD src0_sel:DWORD src1_sel:WORD_1
	v_add_f16_e32 v108, v108, v13
	v_add_f16_sdwa v109, v109, v13 dst_sel:DWORD dst_unused:UNUSED_PAD src0_sel:DWORD src1_sel:WORD_1
	;; [unrolled: 2-line block ×3, first 2 shown]
	v_add_f16_e32 v50, v58, v105
	v_add_f16_e32 v58, v115, v106
	;; [unrolled: 1-line block ×6, first 2 shown]
	v_mul_f16_e32 v103, 0x3770, v65
	v_fma_f16 v94, v64, 0xbbc4, -v95
	v_fmamk_f16 v95, v64, 0xb5ac, v96
	v_fma_f16 v96, v64, 0xb5ac, -v96
	v_fmamk_f16 v130, v64, 0x3b15, v97
	;; [unrolled: 2-line block ×4, first 2 shown]
	v_fma_f16 v63, v64, 0xb9fd, -v63
	v_fma_f16 v64, v66, 0xb5ac, -v99
	;; [unrolled: 1-line block ×3, first 2 shown]
	v_fmamk_f16 v135, v69, 0xb9fd, v102
	v_add_f16_e32 v110, v110, v13
	v_add_f16_sdwa v53, v53, v13 dst_sel:DWORD dst_unused:UNUSED_PAD src0_sel:DWORD src1_sel:WORD_1
	v_add_f16_e32 v77, v77, v13
	v_add_f16_sdwa v78, v78, v13 dst_sel:DWORD dst_unused:UNUSED_PAD src0_sel:DWORD src1_sel:WORD_1
	;; [unrolled: 2-line block ×6, first 2 shown]
	v_add_f16_e32 v52, v81, v71
	v_add_f16_e32 v71, v82, v73
	;; [unrolled: 1-line block ×14, first 2 shown]
	v_mul_f16_e32 v54, 0x3770, v67
	v_add_f16_e32 v53, v122, v53
	v_add_f16_e32 v13, v59, v13
	;; [unrolled: 1-line block ×10, first 2 shown]
	v_add_f16_sdwa v39, v40, v39 dst_sel:WORD_1 dst_unused:UNUSED_PAD src0_sel:DWORD src1_sel:DWORD
	v_add_f16_e32 v40, v135, v56
	v_fma_f16 v44, v69, 0xb9fd, -v102
	v_fma_f16 v50, v66, 0x3b15, -v103
	v_fmamk_f16 v55, v69, 0x3b15, v54
	v_fma_f16 v54, v69, 0x3b15, -v54
	v_mul_f16_e32 v56, 0xbbf1, v67
	v_fmac_f16_e32 v99, 0xb5ac, v66
	v_fmac_f16_e32 v101, 0xb9fd, v66
	v_add_f16_e32 v51, v57, v51
	v_add_f16_e32 v52, v89, v52
	;; [unrolled: 1-line block ×5, first 2 shown]
	v_or_b32_sdwa v39, v39, v41 dst_sel:DWORD dst_unused:UNUSED_PAD src0_sel:DWORD src1_sel:WORD_0
	v_add_f16_e32 v41, v44, v58
	v_add_f16_e32 v44, v50, v59
	v_mul_f16_e32 v50, 0xbbf1, v65
	v_add_f16_e32 v55, v55, v60
	v_add_f16_e32 v54, v54, v68
	v_fmamk_f16 v59, v69, 0x2fb7, v56
	v_mul_f16_e32 v60, 0x33a8, v65
	v_mul_f16_e32 v63, 0x3a95, v65
	v_add_f16_e32 v68, v37, v38
	v_sub_f16_e32 v37, v37, v38
	v_add_f16_e32 v83, v119, v112
	v_add_f16_e32 v51, v61, v51
	;; [unrolled: 1-line block ×4, first 2 shown]
	v_fmac_f16_e32 v103, 0x3b15, v66
	v_fma_f16 v57, v66, 0x2fb7, -v50
	v_fmac_f16_e32 v50, 0x2fb7, v66
	v_add_f16_e32 v53, v59, v53
	v_fma_f16 v59, v66, 0xbbc4, -v60
	v_fmac_f16_e32 v60, 0xbbc4, v66
	v_mul_f16_e32 v64, 0x3a95, v67
	v_fma_f16 v65, v66, 0x388b, -v63
	v_fmac_f16_e32 v63, 0x388b, v66
	v_sub_f16_e32 v66, v35, v36
	v_add_f16_e32 v35, v35, v36
	v_mul_f16_e32 v36, 0xb94e, v37
	v_add_f16_e32 v47, v129, v83
	v_mul_f16_e32 v61, 0x33a8, v67
	v_fmamk_f16 v67, v69, 0x388b, v64
	v_fma_f16 v64, v69, 0x388b, -v64
	v_mul_f16_e32 v38, 0xb94e, v66
	v_add_f16_e32 v51, v63, v51
	v_fmamk_f16 v63, v35, 0xb9fd, v36
	v_add_f16_e32 v47, v65, v47
	v_add_f16_e32 v13, v64, v13
	v_fma_f16 v65, v68, 0xb9fd, -v38
	v_mul_f16_e32 v64, 0x3bf1, v66
	v_fmac_f16_e32 v38, 0xb9fd, v68
	v_fma_f16 v36, v35, 0xb9fd, -v36
	v_add_f16_e32 v46, v63, v46
	v_mul_f16_e32 v63, 0x3bf1, v37
	v_add_f16_e32 v43, v65, v43
	v_fma_f16 v65, v68, 0x2fb7, -v64
	v_add_f16_e32 v38, v38, v42
	v_add_f16_e32 v36, v36, v45
	v_mul_f16_e32 v42, 0xba95, v66
	v_fmamk_f16 v45, v35, 0x2fb7, v63
	v_add_f16_e32 v77, v84, v77
	v_add_f16_e32 v84, v124, v114
	v_add_f16_e32 v62, v91, v74
	v_add_f16_e32 v49, v65, v49
	v_fmac_f16_e32 v64, 0x2fb7, v68
	v_fma_f16 v63, v35, 0x2fb7, -v63
	v_fma_f16 v65, v68, 0x388b, -v42
	v_add_f16_e32 v40, v45, v40
	v_mul_f16_e32 v45, 0xba95, v37
	v_add_f16_e32 v81, v118, v111
	v_add_f16_e32 v82, v123, v113
	v_add_f16_e32 v71, v92, v77
	v_add_f16_e32 v48, v132, v84
	v_add_f16_e32 v58, v103, v62
	v_add_f16_e32 v52, v64, v52
	v_add_f16_e32 v41, v63, v41
	v_add_f16_e32 v44, v65, v44
	v_mul_f16_e32 v63, 0x33a8, v66
	v_fmamk_f16 v64, v35, 0x388b, v45
	v_fmac_f16_e32 v42, 0x388b, v68
	v_fma_f16 v45, v35, 0x388b, -v45
	v_mul_f16_e32 v65, 0x33a8, v37
	v_add_f16_e32 v78, v87, v78
	v_add_f16_e32 v73, v128, v81
	;; [unrolled: 1-line block ×4, first 2 shown]
	v_fmamk_f16 v62, v69, 0xbbc4, v61
	v_add_f16_e32 v48, v67, v48
	v_fma_f16 v67, v68, 0xbbc4, -v63
	v_add_f16_e32 v55, v64, v55
	v_add_f16_e32 v42, v42, v58
	;; [unrolled: 1-line block ×3, first 2 shown]
	v_fmamk_f16 v54, v35, 0xbbc4, v65
	v_fmac_f16_e32 v63, 0xbbc4, v68
	v_mul_f16_e32 v58, 0x3770, v66
	v_mul_f16_e32 v64, 0x3770, v37
	v_add_f16_e32 v79, v85, v79
	v_add_f16_e32 v72, v97, v78
	v_fma_f16 v56, v69, 0x2fb7, -v56
	v_add_f16_e32 v59, v59, v73
	v_add_f16_e32 v62, v62, v74
	;; [unrolled: 1-line block ×3, first 2 shown]
	v_fma_f16 v54, v35, 0xbbc4, -v65
	v_add_f16_e32 v50, v63, v50
	v_fma_f16 v63, v68, 0x3b15, -v58
	v_fmamk_f16 v65, v35, 0x3b15, v64
	v_mul_f16_e32 v37, 0xbb7b, v37
	v_add_f16_e32 v75, v93, v79
	v_add_f16_e32 v56, v56, v72
	;; [unrolled: 1-line block ×4, first 2 shown]
	v_fma_f16 v63, v35, 0x3b15, -v64
	v_fmamk_f16 v65, v35, 0xb5ac, v37
	v_fma_f16 v35, v35, 0xb5ac, -v37
	v_add_f16_e32 v37, v14, v34
	v_sub_f16_e32 v14, v14, v34
	v_add_f16_e32 v60, v60, v75
	v_fmac_f16_e32 v58, 0x3b15, v68
	v_add_f16_e32 v54, v54, v56
	v_mul_f16_e32 v56, 0xbb7b, v66
	v_sub_f16_e32 v64, v16, v33
	v_add_f16_e32 v16, v16, v33
	v_mul_f16_e32 v33, 0xb3a8, v14
	v_add_f16_e32 v58, v58, v60
	v_fma_f16 v60, v68, 0xb5ac, -v56
	v_fmac_f16_e32 v56, 0xb5ac, v68
	v_mul_f16_e32 v34, 0xb3a8, v64
	v_add_f16_e32 v13, v35, v13
	v_fmamk_f16 v35, v16, 0xbbc4, v33
	v_add_f16_e32 v47, v60, v47
	v_add_f16_e32 v51, v56, v51
	v_fma_f16 v60, v37, 0xbbc4, -v34
	v_mul_f16_e32 v56, 0x3770, v64
	v_fma_f16 v33, v16, 0xbbc4, -v33
	v_add_f16_e32 v76, v117, v110
	v_add_f16_e32 v80, v88, v80
	v_fmac_f16_e32 v34, 0xbbc4, v37
	v_add_f16_e32 v35, v35, v46
	v_mul_f16_e32 v46, 0x3770, v14
	v_add_f16_e32 v43, v60, v43
	v_fma_f16 v60, v37, 0x3b15, -v56
	v_add_f16_e32 v33, v33, v36
	v_mul_f16_e32 v36, 0xb94e, v64
	v_add_f16_e32 v70, v127, v76
	v_add_f16_e32 v76, v98, v80
	v_fma_f16 v61, v69, 0xbbc4, -v61
	v_add_f16_e32 v34, v34, v38
	v_fmamk_f16 v38, v16, 0x3b15, v46
	v_fma_f16 v46, v16, 0x3b15, -v46
	v_add_f16_e32 v49, v60, v49
	v_fma_f16 v60, v37, 0xb9fd, -v36
	v_add_f16_e32 v57, v57, v70
	v_add_f16_e32 v61, v61, v76
	v_fmac_f16_e32 v56, 0x3b15, v37
	v_add_f16_e32 v38, v38, v40
	v_mul_f16_e32 v40, 0xb94e, v14
	v_add_f16_e32 v41, v46, v41
	v_mul_f16_e32 v46, 0x3a95, v64
	v_add_f16_e32 v44, v60, v44
	v_fmac_f16_e32 v36, 0xb9fd, v37
	v_mul_f16_e32 v60, 0x3a95, v14
	v_add_f16_e32 v57, v67, v57
	v_add_f16_e32 v61, v63, v61
	;; [unrolled: 1-line block ×3, first 2 shown]
	v_fmamk_f16 v56, v16, 0xb9fd, v40
	v_fma_f16 v40, v16, 0xb9fd, -v40
	v_fma_f16 v63, v37, 0x388b, -v46
	v_add_f16_e32 v36, v36, v42
	v_fmamk_f16 v42, v16, 0x388b, v60
	v_add_f16_e32 v55, v56, v55
	v_add_f16_e32 v40, v40, v45
	;; [unrolled: 1-line block ×3, first 2 shown]
	v_mul_f16_e32 v56, 0xbb7b, v64
	v_fmac_f16_e32 v46, 0x388b, v37
	v_fma_f16 v57, v16, 0x388b, -v60
	v_add_f16_e32 v42, v42, v53
	v_mul_f16_e32 v53, 0xbb7b, v14
	v_fma_f16 v60, v37, 0xb5ac, -v56
	v_add_f16_e32 v46, v46, v50
	v_add_f16_e32 v50, v57, v54
	v_mul_f16_e32 v54, 0x3bf1, v64
	v_mul_f16_e32 v14, 0x3bf1, v14
	v_fmamk_f16 v57, v16, 0xb5ac, v53
	v_add_f16_e32 v48, v65, v48
	v_add_f16_e32 v59, v60, v59
	v_fmac_f16_e32 v56, 0xb5ac, v37
	v_fma_f16 v60, v37, 0x2fb7, -v54
	v_fmac_f16_e32 v54, 0x2fb7, v37
	v_fmamk_f16 v37, v16, 0x2fb7, v14
	v_fma_f16 v14, v16, 0x2fb7, -v14
	v_fma_f16 v53, v16, 0xb5ac, -v53
	v_add_f16_e32 v57, v57, v62
	v_pack_b32_f16 v16, v43, v35
	v_add_f16_e32 v47, v60, v47
	v_pack_b32_f16 v35, v49, v38
	v_pack_b32_f16 v38, v44, v55
	v_add_f16_e32 v37, v37, v48
	v_add_f16_e32 v43, v54, v51
	;; [unrolled: 1-line block ×5, first 2 shown]
	ds_write2_b32 v19, v39, v16 offset1:13
	ds_write2_b32 v19, v35, v38 offset0:26 offset1:39
	v_pack_b32_f16 v14, v45, v42
	v_pack_b32_f16 v16, v59, v57
	v_pack_b32_f16 v35, v47, v37
	v_pack_b32_f16 v13, v43, v13
	v_pack_b32_f16 v37, v56, v53
	v_pack_b32_f16 v38, v46, v50
	v_pack_b32_f16 v36, v36, v40
	v_pack_b32_f16 v39, v52, v41
	v_pack_b32_f16 v33, v34, v33
	ds_write2_b32 v19, v14, v16 offset0:52 offset1:65
	ds_write2_b32 v19, v35, v13 offset0:78 offset1:91
	;; [unrolled: 1-line block ×4, first 2 shown]
	ds_write_b32 v19, v33 offset:624
	s_waitcnt lgkmcnt(0)
	s_barrier
	buffer_gl0_inv
	s_clause 0xc
	global_load_dword v41, v15, s[0:1] offset:676
	global_load_dword v42, v15, s[6:7] offset:52
	;; [unrolled: 1-line block ×13, first 2 shown]
	ds_read2_b32 v[13:14], v19 offset1:13
	ds_read2_b32 v[15:16], v19 offset0:26 offset1:39
	ds_read2_b32 v[33:34], v19 offset0:52 offset1:65
	;; [unrolled: 1-line block ×5, first 2 shown]
	ds_read_b32 v54, v19 offset:624
	s_waitcnt lgkmcnt(6)
	v_lshrrev_b32_e32 v55, 16, v13
	v_lshrrev_b32_e32 v56, 16, v14
	s_waitcnt lgkmcnt(5)
	v_lshrrev_b32_e32 v57, 16, v15
	v_lshrrev_b32_e32 v58, 16, v16
	;; [unrolled: 3-line block ×6, first 2 shown]
	s_waitcnt lgkmcnt(0)
	v_lshrrev_b32_e32 v67, 16, v54
	s_waitcnt vmcnt(12)
	v_mul_f16_sdwa v68, v13, v41 dst_sel:DWORD dst_unused:UNUSED_PAD src0_sel:DWORD src1_sel:WORD_1
	v_mul_f16_sdwa v69, v55, v41 dst_sel:DWORD dst_unused:UNUSED_PAD src0_sel:DWORD src1_sel:WORD_1
	s_waitcnt vmcnt(11)
	v_mul_f16_sdwa v70, v56, v42 dst_sel:DWORD dst_unused:UNUSED_PAD src0_sel:DWORD src1_sel:WORD_1
	v_mul_f16_sdwa v71, v14, v42 dst_sel:DWORD dst_unused:UNUSED_PAD src0_sel:DWORD src1_sel:WORD_1
	;; [unrolled: 3-line block ×13, first 2 shown]
	v_fmac_f16_e32 v68, v55, v41
	v_fma_f16 v13, v13, v41, -v69
	v_fma_f16 v14, v14, v42, -v70
	v_fmac_f16_e32 v71, v56, v42
	v_fmac_f16_e32 v72, v57, v43
	v_fma_f16 v15, v15, v43, -v73
	v_fma_f16 v16, v16, v44, -v74
	v_fmac_f16_e32 v75, v58, v44
	;; [unrolled: 4-line block ×6, first 2 shown]
	v_fma_f16 v41, v54, v53, -v92
	v_fmac_f16_e32 v93, v67, v53
	v_pack_b32_f16 v13, v13, v68
	v_pack_b32_f16 v14, v14, v71
	;; [unrolled: 1-line block ×13, first 2 shown]
	ds_write2_b32 v19, v13, v14 offset1:13
	ds_write2_b32 v19, v15, v16 offset0:26 offset1:39
	ds_write2_b32 v19, v33, v34 offset0:52 offset1:65
	;; [unrolled: 1-line block ×5, first 2 shown]
	ds_write_b32 v19, v41 offset:624
	s_waitcnt lgkmcnt(0)
	s_barrier
	buffer_gl0_inv
	ds_read2_b32 v[15:16], v19 offset1:13
	ds_read_b32 v42, v19 offset:624
	ds_read2_b32 v[43:44], v19 offset0:26 offset1:39
	ds_read2_b32 v[45:46], v19 offset0:52 offset1:65
	;; [unrolled: 1-line block ×5, first 2 shown]
	v_mov_b32_e32 v51, 0xb770
	v_mov_b32_e32 v35, 0x3b15
	v_mov_b32_e32 v36, 0xba95
	v_mov_b32_e32 v34, 0x388b
	v_mov_b32_e32 v39, 0xbbf1
	v_mov_b32_e32 v37, 0x2fb7
	v_mov_b32_e32 v33, 0xbb7b
	v_mov_b32_e32 v38, 0xb5ac
	v_mov_b32_e32 v41, 0xb94e
	v_mov_b32_e32 v40, 0xb9fd
	s_waitcnt lgkmcnt(0)
	s_barrier
	buffer_gl0_inv
	v_alignbit_b32 v54, s0, v16, 16
	v_pk_add_f16 v52, v16, v42 neg_lo:[0,1] neg_hi:[0,1]
	v_pk_add_f16 v53, v42, v16
	v_pk_add_f16 v16, v16, v15 op_sel_hi:[1,0]
	v_alignbit_b32 v55, s0, v43, 16
	v_pk_add_f16 v54, v54, v15 op_sel:[0,1] op_sel_hi:[1,0]
	v_alignbit_b32 v56, s0, v44, 16
	v_alignbit_b32 v57, s0, v45, 16
	v_pk_add_f16 v16, v16, v43
	v_pk_add_f16 v69, v49, v44
	;; [unrolled: 1-line block ×3, first 2 shown]
	v_pk_add_f16 v70, v44, v49 neg_lo:[0,1] neg_hi:[0,1]
	v_alignbit_b32 v58, s0, v46, 16
	v_pk_add_f16 v16, v16, v44
	v_alignbit_b32 v59, s0, v13, 16
	v_pk_add_f16 v44, v54, v56
	v_alignbit_b32 v64, s0, v14, 16
	v_alignbit_b32 v65, s0, v47, 16
	v_pk_add_f16 v16, v16, v45
	v_alignbit_b32 v66, s0, v48, 16
	v_pk_add_f16 v44, v44, v57
	v_alignbit_b32 v71, s0, v49, 16
	v_pk_add_f16 v68, v43, v50 neg_lo:[0,1] neg_hi:[0,1]
	v_pk_add_f16 v16, v16, v46
	v_alignbit_b32 v72, s0, v50, 16
	v_pk_add_f16 v44, v44, v58
	v_mul_f16_sdwa v51, v52, v51 dst_sel:DWORD dst_unused:UNUSED_PAD src0_sel:WORD_1 src1_sel:DWORD
	v_pk_add_f16 v67, v50, v43
	v_pk_add_f16 v16, v16, v13
	v_alignbit_b32 v73, s0, v42, 16
	v_pk_add_f16 v44, v44, v59
	v_mul_f16_sdwa v74, v53, v35 dst_sel:DWORD dst_unused:UNUSED_PAD src0_sel:WORD_1 src1_sel:DWORD
	v_mul_f16_sdwa v75, v52, v36 dst_sel:DWORD dst_unused:UNUSED_PAD src0_sel:WORD_1 src1_sel:DWORD
	v_pk_add_f16 v16, v16, v14
	v_mul_f16_sdwa v76, v53, v34 dst_sel:DWORD dst_unused:UNUSED_PAD src0_sel:WORD_1 src1_sel:DWORD
	v_pk_add_f16 v44, v44, v64
	v_mul_f16_sdwa v77, v52, v39 dst_sel:DWORD dst_unused:UNUSED_PAD src0_sel:WORD_1 src1_sel:DWORD
	v_mul_f16_sdwa v78, v53, v37 dst_sel:DWORD dst_unused:UNUSED_PAD src0_sel:WORD_1 src1_sel:DWORD
	v_pk_add_f16 v16, v16, v47
	v_mul_f16_sdwa v79, v52, v33 dst_sel:DWORD dst_unused:UNUSED_PAD src0_sel:WORD_1 src1_sel:DWORD
	v_pk_add_f16 v44, v44, v65
	v_mul_f16_sdwa v80, v53, v38 dst_sel:DWORD dst_unused:UNUSED_PAD src0_sel:WORD_1 src1_sel:DWORD
	v_mul_f16_sdwa v81, v52, v41 dst_sel:DWORD dst_unused:UNUSED_PAD src0_sel:WORD_1 src1_sel:DWORD
	v_pk_add_f16 v16, v16, v48
	v_mul_f16_sdwa v82, v53, v40 dst_sel:DWORD dst_unused:UNUSED_PAD src0_sel:WORD_1 src1_sel:DWORD
	v_pk_add_f16 v44, v44, v66
	v_pk_mul_f16 v83, 0xbbc4, v53 op_sel_hi:[0,1]
	v_mul_f16_sdwa v43, v68, v36 dst_sel:DWORD dst_unused:UNUSED_PAD src0_sel:WORD_1 src1_sel:DWORD
	v_pk_add_f16 v16, v16, v49
	v_fmamk_f16 v86, v53, 0x3b15, v51
	v_pk_add_f16 v44, v44, v71
	v_fma_f16 v51, v53, 0x3b15, -v51
	v_pk_add_f16 v60, v48, v45
	v_pk_add_f16 v16, v16, v50
	v_pk_add_f16 v61, v45, v48 neg_lo:[0,1] neg_hi:[0,1]
	v_pk_add_f16 v44, v44, v72
	v_pk_add_f16 v62, v47, v46
	v_pk_add_f16 v63, v46, v47 neg_lo:[0,1] neg_hi:[0,1]
	v_mul_f16_sdwa v84, v67, v34 dst_sel:DWORD dst_unused:UNUSED_PAD src0_sel:WORD_1 src1_sel:DWORD
	v_mul_f16_sdwa v85, v68, v33 dst_sel:DWORD dst_unused:UNUSED_PAD src0_sel:WORD_1 src1_sel:DWORD
	v_fmamk_f16 v87, v53, 0x388b, v75
	v_fma_f16 v75, v53, 0x388b, -v75
	v_fmamk_f16 v88, v53, 0x2fb7, v77
	v_fma_f16 v77, v53, 0x2fb7, -v77
	;; [unrolled: 2-line block ×4, first 2 shown]
	v_fmamk_f16 v81, v52, 0x3770, v74
	v_fmac_f16_e32 v74, 0xb770, v52
	v_fmamk_f16 v91, v52, 0x3a95, v76
	v_fmac_f16_e32 v76, 0xba95, v52
	;; [unrolled: 2-line block ×5, first 2 shown]
	v_pk_fma_f16 v54, 0xb3a8, v52, v83 op_sel:[0,0,1] op_sel_hi:[0,1,0]
	v_pk_fma_f16 v52, 0xb3a8, v52, v83 op_sel:[0,0,1] op_sel_hi:[0,1,0] neg_lo:[0,1,0] neg_hi:[0,1,0]
	v_fmamk_f16 v45, v67, 0x388b, v43
	v_fma_f16 v43, v67, 0x388b, -v43
	v_add_f16_e32 v46, v86, v15
	v_add_f16_e32 v51, v51, v15
	v_pk_add_f16 v16, v16, v42
	v_pk_add_f16 v42, v44, v73
	v_fmamk_f16 v56, v68, 0x3a95, v84
	v_add_f16_sdwa v57, v81, v15 dst_sel:DWORD dst_unused:UNUSED_PAD src0_sel:DWORD src1_sel:WORD_1
	v_add_f16_sdwa v58, v74, v15 dst_sel:DWORD dst_unused:UNUSED_PAD src0_sel:DWORD src1_sel:WORD_1
	v_add_f16_e32 v59, v87, v15
	v_add_f16_sdwa v74, v91, v15 dst_sel:DWORD dst_unused:UNUSED_PAD src0_sel:DWORD src1_sel:WORD_1
	v_add_f16_e32 v64, v75, v15
	;; [unrolled: 2-line block ×8, first 2 shown]
	v_add_f16_sdwa v53, v82, v15 dst_sel:DWORD dst_unused:UNUSED_PAD src0_sel:DWORD src1_sel:WORD_1
	v_pk_add_f16 v54, v54, v15 op_sel:[0,1] op_sel_hi:[1,0]
	v_pk_add_f16 v15, v52, v15 op_sel:[0,1] op_sel_hi:[1,0]
	v_add_f16_e32 v44, v45, v46
	v_add_f16_e32 v43, v43, v51
	v_perm_b32 v16, v16, v42, 0x1000504
	v_fmac_f16_e32 v84, 0xba95, v68
	v_mul_f16_sdwa v42, v67, v38 dst_sel:DWORD dst_unused:UNUSED_PAD src0_sel:WORD_1 src1_sel:DWORD
	v_fmamk_f16 v46, v67, 0xb5ac, v85
	v_mov_b32_e32 v51, 0xb3a8
	v_mov_b32_e32 v52, 0xbbc4
	v_add_f16_e32 v45, v56, v57
	v_add_f16_e32 v56, v84, v58
	v_fmamk_f16 v57, v68, 0x3b7b, v42
	v_add_f16_e32 v46, v46, v59
	v_mul_f16_sdwa v58, v68, v51 dst_sel:DWORD dst_unused:UNUSED_PAD src0_sel:WORD_1 src1_sel:DWORD
	v_mul_f16_sdwa v59, v67, v52 dst_sel:DWORD dst_unused:UNUSED_PAD src0_sel:WORD_1 src1_sel:DWORD
	v_fma_f16 v72, v67, 0xb5ac, -v85
	v_add_f16_e32 v57, v57, v74
	v_fmac_f16_e32 v42, 0xbb7b, v68
	v_fmamk_f16 v73, v67, 0xbbc4, v58
	v_fmamk_f16 v74, v68, 0x33a8, v59
	v_add_f16_e32 v64, v72, v64
	v_mov_b32_e32 v72, 0x394e
	v_add_f16_e32 v42, v42, v75
	v_add_f16_e32 v73, v73, v76
	;; [unrolled: 1-line block ×3, first 2 shown]
	v_fma_f16 v58, v67, 0xbbc4, -v58
	v_mul_f16_sdwa v74, v68, v72 dst_sel:DWORD dst_unused:UNUSED_PAD src0_sel:WORD_1 src1_sel:DWORD
	v_fmac_f16_e32 v59, 0xb3a8, v68
	v_mul_f16_sdwa v75, v67, v40 dst_sel:DWORD dst_unused:UNUSED_PAD src0_sel:WORD_1 src1_sel:DWORD
	v_mov_b32_e32 v76, 0x3bf1
	v_add_f16_e32 v58, v58, v65
	v_fmamk_f16 v65, v67, 0xb9fd, v74
	v_add_f16_e32 v59, v59, v77
	v_fmamk_f16 v77, v68, 0xb94e, v75
	v_mul_f16_sdwa v79, v68, v76 dst_sel:DWORD dst_unused:UNUSED_PAD src0_sel:WORD_1 src1_sel:DWORD
	v_fma_f16 v74, v67, 0xb9fd, -v74
	v_fmac_f16_e32 v75, 0x394e, v68
	v_add_f16_e32 v48, v65, v48
	v_mul_f16_sdwa v80, v69, v37 dst_sel:DWORD dst_unused:UNUSED_PAD src0_sel:WORD_1 src1_sel:DWORD
	v_fmamk_f16 v65, v67, 0x2fb7, v79
	v_add_f16_e32 v66, v74, v66
	v_mul_f16_sdwa v74, v67, v37 dst_sel:DWORD dst_unused:UNUSED_PAD src0_sel:WORD_1 src1_sel:DWORD
	v_add_f16_e32 v49, v75, v49
	v_pk_mul_f16 v75, 0x3b15, v67 op_sel_hi:[0,1]
	v_fma_f16 v67, v67, 0x2fb7, -v79
	v_mul_f16_sdwa v79, v70, v39 dst_sel:DWORD dst_unused:UNUSED_PAD src0_sel:WORD_1 src1_sel:DWORD
	v_add_f16_e32 v55, v77, v55
	v_add_f16_e32 v65, v65, v71
	v_fmamk_f16 v71, v68, 0xbbf1, v74
	v_fmac_f16_e32 v74, 0x3bf1, v68
	v_pk_fma_f16 v77, 0x3770, v68, v75 op_sel:[0,0,1] op_sel_hi:[0,1,0]
	v_pk_fma_f16 v68, 0x3770, v68, v75 op_sel:[0,0,1] op_sel_hi:[0,1,0] neg_lo:[0,1,0] neg_hi:[0,1,0]
	v_add_f16_e32 v50, v67, v50
	v_fmamk_f16 v67, v69, 0x2fb7, v79
	v_fmamk_f16 v75, v70, 0x3bf1, v80
	v_add_f16_e32 v53, v74, v53
	v_pk_add_f16 v15, v68, v15
	v_mul_f16_sdwa v68, v69, v52 dst_sel:DWORD dst_unused:UNUSED_PAD src0_sel:WORD_1 src1_sel:DWORD
	v_add_f16_e32 v44, v67, v44
	v_add_f16_e32 v45, v75, v45
	v_mul_f16_sdwa v67, v70, v51 dst_sel:DWORD dst_unused:UNUSED_PAD src0_sel:WORD_1 src1_sel:DWORD
	v_fma_f16 v74, v69, 0x2fb7, -v79
	v_mov_b32_e32 v75, 0x3b7b
	v_add_f16_e32 v71, v71, v78
	v_pk_add_f16 v54, v77, v54
	v_fmamk_f16 v77, v69, 0xbbc4, v67
	v_fmamk_f16 v78, v70, 0x33a8, v68
	v_add_f16_e32 v43, v74, v43
	v_mul_f16_sdwa v74, v70, v75 dst_sel:DWORD dst_unused:UNUSED_PAD src0_sel:WORD_1 src1_sel:DWORD
	v_fma_f16 v67, v69, 0xbbc4, -v67
	v_add_f16_e32 v46, v77, v46
	v_add_f16_e32 v57, v78, v57
	v_fmac_f16_e32 v68, 0xb3a8, v70
	v_fmamk_f16 v75, v69, 0xb5ac, v74
	v_mul_f16_sdwa v77, v69, v38 dst_sel:DWORD dst_unused:UNUSED_PAD src0_sel:WORD_1 src1_sel:DWORD
	v_mov_b32_e32 v78, 0x3770
	v_add_f16_e32 v64, v67, v64
	v_add_f16_e32 v42, v68, v42
	;; [unrolled: 1-line block ×3, first 2 shown]
	v_fmamk_f16 v68, v70, 0xbb7b, v77
	v_mul_f16_sdwa v73, v70, v78 dst_sel:DWORD dst_unused:UNUSED_PAD src0_sel:WORD_1 src1_sel:DWORD
	v_fma_f16 v74, v69, 0xb5ac, -v74
	v_fmac_f16_e32 v77, 0x3b7b, v70
	v_mul_f16_sdwa v75, v69, v35 dst_sel:DWORD dst_unused:UNUSED_PAD src0_sel:WORD_1 src1_sel:DWORD
	v_add_f16_e32 v47, v68, v47
	v_fmamk_f16 v68, v69, 0x3b15, v73
	v_add_f16_e32 v58, v74, v58
	v_add_f16_e32 v59, v77, v59
	v_fmamk_f16 v74, v70, 0xb770, v75
	v_mul_f16_sdwa v77, v70, v36 dst_sel:DWORD dst_unused:UNUSED_PAD src0_sel:WORD_1 src1_sel:DWORD
	v_add_f16_e32 v48, v68, v48
	v_fma_f16 v68, v69, 0x3b15, -v73
	v_fmac_f16_e32 v75, 0x3770, v70
	v_add_f16_e32 v55, v74, v55
	v_fmamk_f16 v73, v69, 0x388b, v77
	v_mul_f16_sdwa v74, v69, v34 dst_sel:DWORD dst_unused:UNUSED_PAD src0_sel:WORD_1 src1_sel:DWORD
	v_add_f16_e32 v66, v68, v66
	v_pk_mul_f16 v68, 0xb9fd, v69 op_sel_hi:[0,1]
	v_fmac_f16_e32 v80, 0xbbf1, v70
	v_add_f16_e32 v65, v73, v65
	v_fmamk_f16 v73, v70, 0x3a95, v74
	v_add_f16_e32 v49, v75, v49
	v_fma_f16 v69, v69, 0x388b, -v77
	v_fmac_f16_e32 v74, 0xba95, v70
	v_pk_fma_f16 v75, 0xb94e, v70, v68 op_sel:[0,0,1] op_sel_hi:[0,1,0]
	v_pk_fma_f16 v68, 0xb94e, v70, v68 op_sel:[0,0,1] op_sel_hi:[0,1,0] neg_lo:[0,1,0] neg_hi:[0,1,0]
	v_add_f16_e32 v70, v73, v71
	v_mul_f16_sdwa v71, v61, v33 dst_sel:DWORD dst_unused:UNUSED_PAD src0_sel:WORD_1 src1_sel:DWORD
	v_add_f16_e32 v50, v69, v50
	v_mul_f16_sdwa v69, v60, v38 dst_sel:DWORD dst_unused:UNUSED_PAD src0_sel:WORD_1 src1_sel:DWORD
	v_pk_add_f16 v15, v68, v15
	v_mul_f16_sdwa v68, v61, v72 dst_sel:DWORD dst_unused:UNUSED_PAD src0_sel:WORD_1 src1_sel:DWORD
	v_fmamk_f16 v73, v60, 0xb5ac, v71
	v_fma_f16 v71, v60, 0xb5ac, -v71
	v_add_f16_e32 v56, v80, v56
	v_fmamk_f16 v72, v61, 0x3b7b, v69
	v_fmac_f16_e32 v69, 0xbb7b, v61
	v_add_f16_e32 v44, v73, v44
	v_fmamk_f16 v73, v60, 0xb9fd, v68
	v_add_f16_e32 v43, v71, v43
	v_mul_f16_sdwa v71, v60, v40 dst_sel:DWORD dst_unused:UNUSED_PAD src0_sel:WORD_1 src1_sel:DWORD
	v_add_f16_e32 v45, v72, v45
	v_add_f16_e32 v56, v69, v56
	;; [unrolled: 1-line block ×3, first 2 shown]
	v_mul_f16_sdwa v69, v61, v78 dst_sel:DWORD dst_unused:UNUSED_PAD src0_sel:WORD_1 src1_sel:DWORD
	v_mul_f16_sdwa v72, v60, v35 dst_sel:DWORD dst_unused:UNUSED_PAD src0_sel:WORD_1 src1_sel:DWORD
	v_fmamk_f16 v73, v61, 0xb94e, v71
	v_fma_f16 v68, v60, 0xb9fd, -v68
	v_fmac_f16_e32 v71, 0x394e, v61
	v_add_f16_e32 v53, v74, v53
	v_pk_add_f16 v54, v75, v54
	v_fmamk_f16 v74, v60, 0x3b15, v69
	v_fmamk_f16 v75, v61, 0xb770, v72
	v_add_f16_e32 v64, v68, v64
	v_add_f16_e32 v42, v71, v42
	v_fma_f16 v68, v60, 0x3b15, -v69
	v_mul_f16_sdwa v39, v61, v39 dst_sel:DWORD dst_unused:UNUSED_PAD src0_sel:WORD_1 src1_sel:DWORD
	v_fmac_f16_e32 v72, 0x3770, v61
	v_mul_f16_sdwa v69, v60, v37 dst_sel:DWORD dst_unused:UNUSED_PAD src0_sel:WORD_1 src1_sel:DWORD
	v_mov_b32_e32 v71, 0x33a8
	v_add_f16_e32 v57, v73, v57
	v_add_f16_e32 v58, v68, v58
	v_fmamk_f16 v68, v60, 0x2fb7, v39
	v_add_f16_e32 v59, v72, v59
	v_fmamk_f16 v72, v61, 0x3bf1, v69
	v_mul_f16_sdwa v73, v61, v71 dst_sel:DWORD dst_unused:UNUSED_PAD src0_sel:WORD_1 src1_sel:DWORD
	v_fma_f16 v39, v60, 0x2fb7, -v39
	v_fmac_f16_e32 v69, 0xbbf1, v61
	v_add_f16_e32 v48, v68, v48
	v_add_f16_e32 v55, v72, v55
	v_fmamk_f16 v68, v60, 0xbbc4, v73
	v_add_f16_e32 v39, v39, v66
	v_mul_f16_sdwa v66, v60, v52 dst_sel:DWORD dst_unused:UNUSED_PAD src0_sel:WORD_1 src1_sel:DWORD
	v_add_f16_e32 v49, v69, v49
	v_pk_mul_f16 v69, 0x388b, v60 op_sel_hi:[0,1]
	v_add_f16_e32 v65, v68, v65
	v_fma_f16 v60, v60, 0xbbc4, -v73
	v_fmamk_f16 v68, v61, 0xb3a8, v66
	v_fmac_f16_e32 v66, 0x33a8, v61
	v_pk_fma_f16 v72, 0x3a95, v61, v69 op_sel:[0,0,1] op_sel_hi:[0,1,0]
	v_pk_fma_f16 v61, 0x3a95, v61, v69 op_sel:[0,0,1] op_sel_hi:[0,1,0] neg_lo:[0,1,0] neg_hi:[0,1,0]
	v_mul_f16_sdwa v69, v63, v41 dst_sel:DWORD dst_unused:UNUSED_PAD src0_sel:WORD_1 src1_sel:DWORD
	v_add_f16_e32 v50, v60, v50
	v_add_f16_e32 v53, v66, v53
	v_mul_f16_sdwa v60, v62, v40 dst_sel:DWORD dst_unused:UNUSED_PAD src0_sel:WORD_1 src1_sel:DWORD
	v_add_f16_e32 v68, v68, v70
	v_fmamk_f16 v66, v62, 0xb9fd, v69
	v_pk_add_f16 v15, v61, v15
	v_mul_f16_sdwa v61, v63, v76 dst_sel:DWORD dst_unused:UNUSED_PAD src0_sel:WORD_1 src1_sel:DWORD
	v_fmamk_f16 v70, v63, 0x394e, v60
	v_fmac_f16_e32 v60, 0xb94e, v63
	v_add_f16_e32 v44, v66, v44
	v_fma_f16 v66, v62, 0xb9fd, -v69
	v_mul_f16_sdwa v37, v62, v37 dst_sel:DWORD dst_unused:UNUSED_PAD src0_sel:WORD_1 src1_sel:DWORD
	v_fmamk_f16 v69, v62, 0x2fb7, v61
	v_add_f16_e32 v56, v60, v56
	v_mul_f16_sdwa v36, v63, v36 dst_sel:DWORD dst_unused:UNUSED_PAD src0_sel:WORD_1 src1_sel:DWORD
	v_add_f16_e32 v43, v66, v43
	v_fmamk_f16 v60, v63, 0xbbf1, v37
	v_fma_f16 v61, v62, 0x2fb7, -v61
	v_fmac_f16_e32 v37, 0x3bf1, v63
	v_mul_f16_sdwa v66, v62, v34 dst_sel:DWORD dst_unused:UNUSED_PAD src0_sel:WORD_1 src1_sel:DWORD
	v_add_f16_e32 v47, v75, v47
	v_add_f16_e32 v46, v69, v46
	v_fmamk_f16 v69, v62, 0x388b, v36
	v_add_f16_e32 v57, v60, v57
	v_add_f16_e32 v60, v61, v64
	;; [unrolled: 1-line block ×3, first 2 shown]
	v_fmamk_f16 v42, v63, 0x3a95, v66
	v_fma_f16 v36, v62, 0x388b, -v36
	v_fmac_f16_e32 v66, 0xba95, v63
	v_mul_f16_sdwa v64, v63, v71 dst_sel:DWORD dst_unused:UNUSED_PAD src0_sel:WORD_1 src1_sel:DWORD
	v_add_f16_e32 v67, v74, v67
	v_add_f16_e32 v42, v42, v47
	v_mul_f16_sdwa v47, v62, v52 dst_sel:DWORD dst_unused:UNUSED_PAD src0_sel:WORD_1 src1_sel:DWORD
	v_add_f16_e32 v36, v36, v58
	v_add_f16_e32 v58, v66, v59
	v_fmamk_f16 v59, v62, 0xbbc4, v64
	v_mul_f16_sdwa v66, v63, v78 dst_sel:DWORD dst_unused:UNUSED_PAD src0_sel:WORD_1 src1_sel:DWORD
	v_add_f16_e32 v61, v69, v67
	v_fmamk_f16 v67, v63, 0xb3a8, v47
	v_fma_f16 v64, v62, 0xbbc4, -v64
	v_fmac_f16_e32 v47, 0x33a8, v63
	v_add_f16_e32 v48, v59, v48
	v_fmamk_f16 v59, v62, 0x3b15, v66
	v_pk_add_f16 v54, v72, v54
	v_add_f16_e32 v39, v64, v39
	v_add_f16_e32 v47, v47, v49
	v_mul_f16_sdwa v49, v62, v35 dst_sel:DWORD dst_unused:UNUSED_PAD src0_sel:WORD_1 src1_sel:DWORD
	v_add_f16_e32 v59, v59, v65
	v_fma_f16 v64, v62, 0x3b15, -v66
	v_pk_add_f16 v65, v13, v14 neg_lo:[0,1] neg_hi:[0,1]
	v_pk_mul_f16 v62, 0xb5ac, v62 op_sel_hi:[0,1]
	v_pk_add_f16 v13, v14, v13
	v_fmamk_f16 v66, v63, 0xb770, v49
	v_fmac_f16_e32 v49, 0x3770, v63
	v_mul_f16_sdwa v14, v65, v51 dst_sel:DWORD dst_unused:UNUSED_PAD src0_sel:WORD_1 src1_sel:DWORD
	v_pk_fma_f16 v51, 0xbb7b, v63, v62 op_sel:[0,0,1] op_sel_hi:[0,1,0]
	v_mul_f16_sdwa v52, v13, v52 dst_sel:DWORD dst_unused:UNUSED_PAD src0_sel:WORD_1 src1_sel:DWORD
	v_add_f16_e32 v45, v70, v45
	v_add_f16_e32 v49, v49, v53
	v_pk_fma_f16 v62, 0xbb7b, v63, v62 op_sel:[0,0,1] op_sel_hi:[0,1,0] neg_lo:[0,1,0] neg_hi:[0,1,0]
	v_pk_add_f16 v51, v51, v54
	v_fmamk_f16 v53, v65, 0x33a8, v52
	v_mul_f16_sdwa v54, v65, v78 dst_sel:DWORD dst_unused:UNUSED_PAD src0_sel:WORD_1 src1_sel:DWORD
	v_add_f16_e32 v50, v64, v50
	v_fmamk_f16 v64, v13, 0xbbc4, v14
	v_mul_f16_sdwa v35, v13, v35 dst_sel:DWORD dst_unused:UNUSED_PAD src0_sel:WORD_1 src1_sel:DWORD
	v_fma_f16 v14, v13, 0xbbc4, -v14
	v_fmac_f16_e32 v52, 0xb3a8, v65
	v_add_f16_e32 v45, v53, v45
	v_fmamk_f16 v53, v13, 0x3b15, v54
	v_mul_f16_sdwa v41, v65, v41 dst_sel:DWORD dst_unused:UNUSED_PAD src0_sel:WORD_1 src1_sel:DWORD
	v_pk_add_f16 v15, v62, v15
	v_fmamk_f16 v62, v65, 0xb770, v35
	v_add_f16_e32 v14, v14, v43
	v_add_f16_e32 v43, v52, v56
	;; [unrolled: 1-line block ×3, first 2 shown]
	v_fma_f16 v53, v13, 0x3b15, -v54
	v_fmac_f16_e32 v35, 0x3770, v65
	v_fmamk_f16 v54, v13, 0xb9fd, v41
	v_mul_f16_sdwa v40, v13, v40 dst_sel:DWORD dst_unused:UNUSED_PAD src0_sel:WORD_1 src1_sel:DWORD
	v_mov_b32_e32 v56, 0x3a95
	v_fma_f16 v41, v13, 0xb9fd, -v41
	v_add_f16_e32 v35, v35, v37
	v_add_f16_e32 v37, v54, v61
	v_fmamk_f16 v54, v65, 0x394e, v40
	v_mul_f16_sdwa v56, v65, v56 dst_sel:DWORD dst_unused:UNUSED_PAD src0_sel:WORD_1 src1_sel:DWORD
	v_mul_f16_sdwa v34, v13, v34 dst_sel:DWORD dst_unused:UNUSED_PAD src0_sel:WORD_1 src1_sel:DWORD
	v_add_f16_e32 v55, v67, v55
	v_add_f16_e32 v36, v41, v36
	;; [unrolled: 1-line block ×3, first 2 shown]
	v_fmamk_f16 v54, v13, 0x388b, v56
	v_fmamk_f16 v41, v65, 0xba95, v34
	v_mul_f16_sdwa v33, v65, v33 dst_sel:DWORD dst_unused:UNUSED_PAD src0_sel:WORD_1 src1_sel:DWORD
	v_fmac_f16_e32 v34, 0x3a95, v65
	v_mul_f16_sdwa v38, v13, v38 dst_sel:DWORD dst_unused:UNUSED_PAD src0_sel:WORD_1 src1_sel:DWORD
	v_add_f16_e32 v48, v54, v48
	v_fma_f16 v54, v13, 0x388b, -v56
	v_add_f16_e32 v41, v41, v55
	v_fmamk_f16 v55, v13, 0xb5ac, v33
	v_add_f16_e32 v34, v34, v47
	v_pk_mul_f16 v47, 0x2fb7, v13 op_sel_hi:[0,1]
	v_add_f16_e32 v63, v66, v68
	v_add_f16_e32 v44, v64, v44
	v_add_f16_e32 v52, v62, v57
	v_add_f16_e32 v39, v54, v39
	v_add_f16_e32 v54, v55, v59
	v_fmamk_f16 v55, v65, 0x3b7b, v38
	v_fma_f16 v13, v13, 0xb5ac, -v33
	v_pk_fma_f16 v33, 0x3bf1, v65, v47 op_sel:[0,0,1] op_sel_hi:[0,1,0]
	v_pk_fma_f16 v47, 0x3bf1, v65, v47 op_sel:[0,0,1] op_sel_hi:[0,1,0] neg_lo:[0,1,0] neg_hi:[0,1,0]
	v_fmac_f16_e32 v38, 0xbb7b, v65
	v_fmac_f16_e32 v40, 0xb94e, v65
	v_add_f16_e32 v55, v55, v63
	v_pack_b32_f16 v46, v46, v52
	v_pack_b32_f16 v44, v44, v45
	v_pk_add_f16 v33, v33, v51
	v_pk_add_f16 v15, v47, v15
	v_pack_b32_f16 v41, v48, v41
	v_pack_b32_f16 v37, v37, v42
	v_add_f16_e32 v13, v13, v50
	v_add_f16_e32 v38, v38, v49
	;; [unrolled: 1-line block ×4, first 2 shown]
	ds_write2_b32 v32, v44, v46 offset0:1 offset1:2
	ds_write2_b32 v32, v37, v41 offset0:3 offset1:4
	v_pack_b32_f16 v37, v54, v55
	v_alignbit_b32 v41, v33, v15, 16
	v_alignbit_b32 v15, v15, v33, 16
	v_pack_b32_f16 v33, v39, v34
	v_pack_b32_f16 v13, v13, v38
	;; [unrolled: 1-line block ×5, first 2 shown]
	ds_write2_b32 v32, v16, v37 offset1:5
	ds_write2_b32 v32, v15, v41 offset0:6 offset1:7
	ds_write2_b32 v32, v13, v33 offset0:8 offset1:9
	;; [unrolled: 1-line block ×3, first 2 shown]
	ds_write_b32 v32, v14 offset:48
	s_waitcnt lgkmcnt(0)
	s_barrier
	buffer_gl0_inv
	ds_read2_b32 v[32:33], v19 offset1:13
	ds_read2_b32 v[14:15], v19 offset0:26 offset1:39
	ds_read2_b32 v[34:35], v19 offset0:52 offset1:65
	ds_read2_b32 v[36:37], v19 offset0:78 offset1:91
	ds_read2_b32 v[38:39], v19 offset0:104 offset1:117
	ds_read2_b32 v[40:41], v19 offset0:130 offset1:143
	ds_read_b32 v16, v19 offset:624
	s_waitcnt lgkmcnt(6)
	v_lshrrev_b32_e32 v13, 16, v33
	s_waitcnt lgkmcnt(5)
	v_lshrrev_b32_e32 v42, 16, v14
	v_lshrrev_b32_e32 v43, 16, v15
	s_waitcnt lgkmcnt(4)
	v_lshrrev_b32_e32 v44, 16, v34
	v_mul_f16_sdwa v53, v4, v33 dst_sel:DWORD dst_unused:UNUSED_PAD src0_sel:WORD_1 src1_sel:DWORD
	v_mul_f16_sdwa v51, v4, v13 dst_sel:DWORD dst_unused:UNUSED_PAD src0_sel:WORD_1 src1_sel:DWORD
	;; [unrolled: 1-line block ×3, first 2 shown]
	v_lshrrev_b32_e32 v45, 16, v35
	s_waitcnt lgkmcnt(3)
	v_lshrrev_b32_e32 v46, 16, v36
	v_fma_f16 v53, v4, v13, -v53
	v_fmac_f16_e32 v51, v4, v33
	v_mul_f16_sdwa v33, v5, v14 dst_sel:DWORD dst_unused:UNUSED_PAD src0_sel:WORD_1 src1_sel:DWORD
	v_mul_f16_sdwa v56, v6, v43 dst_sel:DWORD dst_unused:UNUSED_PAD src0_sel:WORD_1 src1_sel:DWORD
	v_fmac_f16_e32 v55, v5, v14
	v_mul_f16_sdwa v4, v6, v15 dst_sel:DWORD dst_unused:UNUSED_PAD src0_sel:WORD_1 src1_sel:DWORD
	v_mul_f16_sdwa v14, v7, v44 dst_sel:DWORD dst_unused:UNUSED_PAD src0_sel:WORD_1 src1_sel:DWORD
	v_fma_f16 v33, v5, v42, -v33
	v_mul_f16_sdwa v5, v7, v34 dst_sel:DWORD dst_unused:UNUSED_PAD src0_sel:WORD_1 src1_sel:DWORD
	v_lshrrev_b32_e32 v47, 16, v37
	s_waitcnt lgkmcnt(2)
	v_lshrrev_b32_e32 v48, 16, v38
	v_lshrrev_b32_e32 v49, 16, v39
	v_fmac_f16_e32 v56, v6, v15
	v_fma_f16 v42, v6, v43, -v4
	v_mul_f16_sdwa v13, v8, v45 dst_sel:DWORD dst_unused:UNUSED_PAD src0_sel:WORD_1 src1_sel:DWORD
	v_fmac_f16_e32 v14, v7, v34
	v_mul_f16_sdwa v6, v8, v35 dst_sel:DWORD dst_unused:UNUSED_PAD src0_sel:WORD_1 src1_sel:DWORD
	v_fma_f16 v15, v7, v44, -v5
	v_mul_f16_sdwa v4, v9, v46 dst_sel:DWORD dst_unused:UNUSED_PAD src0_sel:WORD_1 src1_sel:DWORD
	v_mul_f16_sdwa v7, v9, v36 dst_sel:DWORD dst_unused:UNUSED_PAD src0_sel:WORD_1 src1_sel:DWORD
	;; [unrolled: 1-line block ×3, first 2 shown]
	s_waitcnt lgkmcnt(0)
	v_lshrrev_b32_e32 v54, 16, v16
	v_fmac_f16_e32 v13, v8, v35
	v_fma_f16 v8, v8, v45, -v6
	v_mul_f16_sdwa v5, v10, v47 dst_sel:DWORD dst_unused:UNUSED_PAD src0_sel:WORD_1 src1_sel:DWORD
	v_fmac_f16_e32 v4, v9, v36
	v_fma_f16 v6, v9, v46, -v7
	v_mul_f16_sdwa v9, v11, v48 dst_sel:DWORD dst_unused:UNUSED_PAD src0_sel:WORD_1 src1_sel:DWORD
	v_mul_f16_sdwa v35, v11, v38 dst_sel:DWORD dst_unused:UNUSED_PAD src0_sel:WORD_1 src1_sel:DWORD
	v_fma_f16 v7, v10, v47, -v34
	v_mul_f16_sdwa v34, v0, v49 dst_sel:DWORD dst_unused:UNUSED_PAD src0_sel:WORD_1 src1_sel:DWORD
	v_mul_f16_sdwa v36, v0, v39 dst_sel:DWORD dst_unused:UNUSED_PAD src0_sel:WORD_1 src1_sel:DWORD
	v_lshrrev_b32_e32 v50, 16, v40
	v_lshrrev_b32_e32 v52, 16, v41
	v_fmac_f16_e32 v5, v10, v37
	v_fmac_f16_e32 v9, v11, v38
	v_fma_f16 v10, v11, v48, -v35
	v_mul_f16_sdwa v11, v3, v16 dst_sel:DWORD dst_unused:UNUSED_PAD src0_sel:WORD_1 src1_sel:DWORD
	v_fmac_f16_e32 v34, v0, v39
	v_fma_f16 v36, v0, v49, -v36
	v_mul_f16_sdwa v0, v3, v54 dst_sel:DWORD dst_unused:UNUSED_PAD src0_sel:WORD_1 src1_sel:DWORD
	v_mul_f16_sdwa v35, v1, v50 dst_sel:DWORD dst_unused:UNUSED_PAD src0_sel:WORD_1 src1_sel:DWORD
	v_fma_f16 v11, v3, v54, -v11
	v_mul_f16_sdwa v37, v1, v40 dst_sel:DWORD dst_unused:UNUSED_PAD src0_sel:WORD_1 src1_sel:DWORD
	v_mul_f16_sdwa v38, v2, v52 dst_sel:DWORD dst_unused:UNUSED_PAD src0_sel:WORD_1 src1_sel:DWORD
	v_fmac_f16_e32 v0, v3, v16
	v_mul_f16_sdwa v16, v2, v41 dst_sel:DWORD dst_unused:UNUSED_PAD src0_sel:WORD_1 src1_sel:DWORD
	v_fmac_f16_e32 v35, v1, v40
	v_sub_f16_e32 v3, v53, v11
	v_fma_f16 v1, v1, v50, -v37
	v_fmac_f16_e32 v38, v2, v41
	v_add_f16_e32 v37, v51, v0
	v_add_f16_e32 v40, v53, v11
	v_fma_f16 v2, v2, v52, -v16
	v_sub_f16_e32 v16, v51, v0
	v_add_f16_e32 v51, v51, v32
	v_add_f16_sdwa v53, v53, v32 dst_sel:DWORD dst_unused:UNUSED_PAD src0_sel:DWORD src1_sel:WORD_1
	v_mul_f16_e32 v39, 0xb770, v3
	v_mul_f16_e32 v41, 0xba95, v3
	;; [unrolled: 1-line block ×3, first 2 shown]
	v_add_f16_e32 v51, v51, v55
	v_add_f16_e32 v53, v53, v33
	v_mul_f16_e32 v48, 0xbb7b, v3
	v_mul_f16_e32 v50, 0xb94e, v3
	;; [unrolled: 1-line block ×3, first 2 shown]
	v_add_f16_e32 v51, v51, v56
	v_add_f16_e32 v53, v53, v42
	v_fmamk_f16 v43, v37, 0x3b15, v39
	v_mul_f16_e32 v44, 0x3b15, v40
	v_fma_f16 v39, v37, 0x3b15, -v39
	v_add_f16_e32 v51, v51, v14
	v_add_f16_e32 v53, v53, v15
	v_fmamk_f16 v46, v37, 0x388b, v41
	v_mul_f16_e32 v47, 0x388b, v40
	v_fma_f16 v41, v37, 0x388b, -v41
	v_add_f16_e32 v51, v51, v13
	v_add_f16_e32 v53, v53, v8
	v_fmamk_f16 v49, v37, 0x2fb7, v45
	v_fma_f16 v45, v37, 0x2fb7, -v45
	v_fmamk_f16 v52, v37, 0xb5ac, v48
	v_add_f16_e32 v51, v51, v4
	v_add_f16_e32 v53, v53, v6
	v_fma_f16 v48, v37, 0xb5ac, -v48
	v_fmamk_f16 v54, v37, 0xb9fd, v50
	v_fma_f16 v50, v37, 0xb9fd, -v50
	v_add_f16_e32 v51, v51, v5
	v_add_f16_e32 v53, v53, v7
	v_fmamk_f16 v57, v37, 0xbbc4, v3
	v_fma_f16 v3, v37, 0xbbc4, -v3
	v_mul_f16_e32 v37, 0x2fb7, v40
	v_add_f16_e32 v51, v51, v9
	v_add_f16_e32 v53, v53, v10
	v_mul_f16_e32 v61, 0xb5ac, v40
	v_mul_f16_e32 v62, 0xb9fd, v40
	;; [unrolled: 1-line block ×3, first 2 shown]
	v_add_f16_e32 v51, v51, v34
	v_add_f16_e32 v53, v53, v36
	v_fmamk_f16 v58, v16, 0x3770, v44
	v_fmamk_f16 v59, v16, 0x3a95, v47
	;; [unrolled: 1-line block ×6, first 2 shown]
	v_add_f16_e32 v51, v51, v35
	v_add_f16_e32 v53, v53, v1
	v_fmac_f16_e32 v44, 0xb770, v16
	v_fmac_f16_e32 v47, 0xba95, v16
	;; [unrolled: 1-line block ×6, first 2 shown]
	v_add_f16_e32 v16, v43, v32
	v_add_f16_sdwa v43, v58, v32 dst_sel:DWORD dst_unused:UNUSED_PAD src0_sel:DWORD src1_sel:WORD_1
	v_add_f16_sdwa v58, v59, v32 dst_sel:DWORD dst_unused:UNUSED_PAD src0_sel:DWORD src1_sel:WORD_1
	;; [unrolled: 1-line block ×6, first 2 shown]
	v_sub_f16_e32 v65, v33, v2
	v_add_f16_e32 v51, v51, v38
	v_add_f16_e32 v53, v53, v2
	;; [unrolled: 1-line block ×4, first 2 shown]
	v_mul_f16_e32 v66, 0xba95, v65
	v_add_f16_e32 v0, v51, v0
	v_add_f16_sdwa v11, v53, v11 dst_sel:WORD_1 dst_unused:UNUSED_PAD src0_sel:DWORD src1_sel:DWORD
	v_sub_f16_e32 v38, v55, v38
	v_mul_f16_e32 v51, 0x388b, v2
	v_fmamk_f16 v53, v33, 0x388b, v66
	v_add_f16_e32 v39, v39, v32
	v_or_b32_sdwa v0, v11, v0 dst_sel:DWORD dst_unused:UNUSED_PAD src0_sel:DWORD src1_sel:WORD_0
	v_add_f16_sdwa v44, v44, v32 dst_sel:DWORD dst_unused:UNUSED_PAD src0_sel:DWORD src1_sel:WORD_1
	v_fmamk_f16 v11, v38, 0x3a95, v51
	v_add_f16_e32 v46, v46, v32
	v_add_f16_e32 v41, v41, v32
	v_add_f16_sdwa v47, v47, v32 dst_sel:DWORD dst_unused:UNUSED_PAD src0_sel:DWORD src1_sel:WORD_1
	v_add_f16_e32 v49, v49, v32
	v_add_f16_e32 v45, v45, v32
	v_add_f16_sdwa v37, v37, v32 dst_sel:DWORD dst_unused:UNUSED_PAD src0_sel:DWORD src1_sel:WORD_1
	;; [unrolled: 3-line block ×5, first 2 shown]
	v_add_f16_e32 v16, v53, v16
	v_mul_f16_e32 v40, 0xbb7b, v65
	v_fma_f16 v53, v33, 0x388b, -v66
	v_fmac_f16_e32 v51, 0xba95, v38
	v_add_f16_e32 v11, v11, v43
	v_mul_f16_e32 v43, 0xb5ac, v2
	v_fmamk_f16 v55, v33, 0xb5ac, v40
	v_add_f16_e32 v39, v53, v39
	v_add_f16_e32 v44, v51, v44
	v_mul_f16_e32 v51, 0xb3a8, v65
	v_fmamk_f16 v53, v38, 0x3b7b, v43
	v_add_f16_e32 v46, v55, v46
	v_fma_f16 v40, v33, 0xb5ac, -v40
	v_fmac_f16_e32 v43, 0xbb7b, v38
	v_fmamk_f16 v55, v33, 0xbbc4, v51
	v_add_f16_e32 v53, v53, v58
	v_mul_f16_e32 v58, 0xbbc4, v2
	v_add_f16_e32 v40, v40, v41
	v_add_f16_e32 v41, v43, v47
	;; [unrolled: 1-line block ×3, first 2 shown]
	v_mul_f16_e32 v47, 0x394e, v65
	v_fmamk_f16 v49, v38, 0x33a8, v58
	v_fma_f16 v51, v33, 0xbbc4, -v51
	v_mul_f16_e32 v55, 0xb9fd, v2
	v_fmac_f16_e32 v58, 0xb3a8, v38
	v_fmamk_f16 v66, v33, 0xb9fd, v47
	v_add_f16_e32 v49, v49, v59
	v_add_f16_e32 v45, v51, v45
	v_fmamk_f16 v51, v38, 0xb94e, v55
	v_add_f16_e32 v37, v58, v37
	v_fma_f16 v47, v33, 0xb9fd, -v47
	v_fmac_f16_e32 v55, 0x394e, v38
	v_mul_f16_e32 v58, 0x3bf1, v65
	v_mul_f16_e32 v59, 0x2fb7, v2
	v_add_f16_e32 v51, v51, v60
	v_add_f16_e32 v47, v47, v48
	;; [unrolled: 1-line block ×3, first 2 shown]
	v_fmamk_f16 v60, v33, 0x2fb7, v58
	v_fmamk_f16 v61, v38, 0xbbf1, v59
	v_fma_f16 v58, v33, 0x2fb7, -v58
	v_fmac_f16_e32 v59, 0x3bf1, v38
	v_mul_f16_e32 v55, 0x3770, v65
	v_mul_f16_e32 v2, 0x3b15, v2
	v_add_f16_e32 v54, v60, v54
	v_add_f16_e32 v50, v58, v50
	v_add_f16_e32 v58, v59, v62
	v_sub_f16_e32 v59, v42, v1
	v_add_f16_e32 v1, v42, v1
	v_fmamk_f16 v65, v33, 0x3b15, v55
	v_add_f16_e32 v60, v61, v63
	v_fma_f16 v33, v33, 0x3b15, -v55
	v_add_f16_e32 v55, v56, v35
	v_fmamk_f16 v61, v38, 0xb770, v2
	v_fmac_f16_e32 v2, 0x3770, v38
	v_sub_f16_e32 v35, v56, v35
	v_mul_f16_e32 v38, 0x2fb7, v1
	v_mul_f16_e32 v42, 0xbbf1, v59
	v_add_f16_e32 v3, v33, v3
	v_add_f16_e32 v2, v2, v32
	v_mul_f16_e32 v33, 0xb3a8, v59
	v_fmamk_f16 v32, v35, 0x3bf1, v38
	v_fmamk_f16 v56, v55, 0x2fb7, v42
	v_fma_f16 v42, v55, 0x2fb7, -v42
	v_fmac_f16_e32 v38, 0xbbf1, v35
	v_add_f16_e32 v52, v66, v52
	v_add_f16_e32 v11, v32, v11
	v_mul_f16_e32 v32, 0xbbc4, v1
	v_add_f16_e32 v16, v56, v16
	v_fmamk_f16 v56, v55, 0xbbc4, v33
	v_add_f16_e32 v39, v42, v39
	v_add_f16_e32 v38, v38, v44
	v_mul_f16_e32 v42, 0x3b7b, v59
	v_fmamk_f16 v44, v35, 0x33a8, v32
	v_fmac_f16_e32 v32, 0xb3a8, v35
	v_add_f16_e32 v46, v56, v46
	v_fma_f16 v33, v55, 0xbbc4, -v33
	v_fmamk_f16 v56, v55, 0xb5ac, v42
	v_add_f16_e32 v44, v44, v53
	v_mul_f16_e32 v53, 0xb5ac, v1
	v_add_f16_e32 v32, v32, v41
	v_mul_f16_e32 v41, 0x3770, v59
	v_add_f16_e32 v33, v33, v40
	v_add_f16_e32 v40, v56, v43
	v_fmamk_f16 v43, v35, 0xbb7b, v53
	v_fma_f16 v42, v55, 0xb5ac, -v42
	v_mul_f16_e32 v56, 0x3b15, v1
	v_fmamk_f16 v62, v55, 0x3b15, v41
	v_fmac_f16_e32 v53, 0x3b7b, v35
	v_add_f16_e32 v43, v43, v49
	v_add_f16_e32 v42, v42, v45
	v_fmamk_f16 v45, v35, 0xb770, v56
	v_add_f16_e32 v49, v62, v52
	v_fma_f16 v41, v55, 0x3b15, -v41
	v_fmac_f16_e32 v56, 0x3770, v35
	v_mul_f16_e32 v52, 0xba95, v59
	v_add_f16_e32 v37, v53, v37
	v_mul_f16_e32 v53, 0xb94e, v59
	v_add_f16_e32 v41, v41, v47
	v_add_f16_e32 v47, v56, v48
	v_fmamk_f16 v48, v55, 0x388b, v52
	v_fma_f16 v52, v55, 0x388b, -v52
	v_add_f16_e32 v57, v65, v57
	v_add_f16_e32 v45, v45, v51
	v_mul_f16_e32 v51, 0x388b, v1
	v_add_f16_e32 v48, v48, v54
	v_fmamk_f16 v54, v55, 0xb9fd, v53
	v_add_f16_e32 v50, v52, v50
	v_sub_f16_e32 v52, v15, v36
	v_mul_f16_e32 v1, 0xb9fd, v1
	v_fma_f16 v53, v55, 0xb9fd, -v53
	v_add_f16_e32 v54, v54, v57
	v_add_f16_e32 v55, v14, v34
	v_mul_f16_e32 v57, 0xbb7b, v52
	v_add_f16_e32 v15, v15, v36
	v_fmamk_f16 v56, v35, 0x3a95, v51
	v_fmac_f16_e32 v51, 0xba95, v35
	v_fmamk_f16 v36, v35, 0x394e, v1
	v_fmac_f16_e32 v1, 0xb94e, v35
	v_sub_f16_e32 v14, v14, v34
	v_fmamk_f16 v34, v55, 0xb5ac, v57
	v_mul_f16_e32 v35, 0xb5ac, v15
	v_add_f16_e32 v3, v53, v3
	v_add_f16_e32 v1, v1, v2
	v_fma_f16 v53, v55, 0xb5ac, -v57
	v_add_f16_e32 v2, v34, v16
	v_fmamk_f16 v16, v14, 0x3b7b, v35
	v_mul_f16_e32 v34, 0x394e, v52
	v_fmac_f16_e32 v35, 0xbb7b, v14
	v_mul_f16_e32 v57, 0xb9fd, v15
	v_add_f16_e32 v39, v53, v39
	v_add_f16_e32 v11, v16, v11
	v_fmamk_f16 v16, v55, 0xb9fd, v34
	v_add_f16_e32 v35, v35, v38
	v_fmamk_f16 v38, v14, 0xb94e, v57
	v_mul_f16_e32 v53, 0x3770, v52
	v_fma_f16 v34, v55, 0xb9fd, -v34
	v_add_f16_e32 v16, v16, v46
	v_fmac_f16_e32 v57, 0x394e, v14
	v_add_f16_e32 v38, v38, v44
	v_fmamk_f16 v44, v55, 0x3b15, v53
	v_mul_f16_e32 v46, 0x3b15, v15
	v_add_f16_e32 v33, v34, v33
	v_mul_f16_e32 v34, 0xbbf1, v52
	v_add_f16_e32 v51, v51, v58
	v_add_f16_e32 v32, v57, v32
	v_add_f16_e32 v40, v44, v40
	v_fmamk_f16 v44, v14, 0xb770, v46
	v_fmac_f16_e32 v46, 0x3770, v14
	v_fmamk_f16 v57, v55, 0x2fb7, v34
	v_mul_f16_e32 v58, 0x2fb7, v15
	v_fma_f16 v53, v55, 0x3b15, -v53
	v_add_f16_e32 v43, v44, v43
	v_add_f16_e32 v37, v46, v37
	;; [unrolled: 1-line block ×3, first 2 shown]
	v_fmamk_f16 v46, v14, 0x3bf1, v58
	v_mul_f16_e32 v49, 0x33a8, v52
	v_add_f16_e32 v42, v53, v42
	v_fma_f16 v34, v55, 0x2fb7, -v34
	v_fmac_f16_e32 v58, 0xbbf1, v14
	v_mul_f16_e32 v53, 0xbbc4, v15
	v_add_f16_e32 v45, v46, v45
	v_fmamk_f16 v46, v55, 0xbbc4, v49
	v_add_f16_e32 v34, v34, v41
	v_add_f16_e32 v41, v58, v47
	v_fmamk_f16 v47, v14, 0xb3a8, v53
	v_mul_f16_e32 v52, 0x3a95, v52
	v_add_f16_e32 v46, v46, v48
	v_fma_f16 v48, v55, 0xbbc4, -v49
	v_fmac_f16_e32 v53, 0x33a8, v14
	v_mul_f16_e32 v15, 0x388b, v15
	v_fmamk_f16 v49, v55, 0x388b, v52
	v_fma_f16 v52, v55, 0x388b, -v52
	v_add_f16_e32 v48, v48, v50
	v_add_f16_e32 v50, v53, v51
	v_sub_f16_e32 v51, v8, v10
	v_add_f16_e32 v8, v8, v10
	v_add_f16_e32 v49, v49, v54
	v_fmamk_f16 v53, v14, 0xba95, v15
	v_add_f16_e32 v54, v13, v9
	v_mul_f16_e32 v10, 0xb94e, v51
	v_fmac_f16_e32 v15, 0x3a95, v14
	v_sub_f16_e32 v9, v13, v9
	v_mul_f16_e32 v13, 0xb9fd, v8
	v_add_f16_e32 v3, v52, v3
	v_fmamk_f16 v14, v54, 0xb9fd, v10
	v_add_f16_e32 v1, v15, v1
	v_fma_f16 v10, v54, 0xb9fd, -v10
	v_fmamk_f16 v15, v9, 0x394e, v13
	v_fmac_f16_e32 v13, 0xb94e, v9
	v_add_f16_e32 v2, v14, v2
	v_mul_f16_e32 v14, 0x3bf1, v51
	v_add_f16_e32 v10, v10, v39
	v_add_f16_e32 v11, v15, v11
	v_mul_f16_e32 v15, 0x2fb7, v8
	v_add_f16_e32 v13, v13, v35
	v_fmamk_f16 v52, v54, 0x2fb7, v14
	v_mul_f16_e32 v35, 0xba95, v51
	v_add_f16_e32 v61, v61, v64
	v_fmamk_f16 v39, v9, 0xbbf1, v15
	v_fma_f16 v14, v54, 0x2fb7, -v14
	v_add_f16_e32 v16, v52, v16
	v_fmac_f16_e32 v15, 0x3bf1, v9
	v_fmamk_f16 v52, v54, 0x388b, v35
	v_add_f16_e32 v38, v39, v38
	v_mul_f16_e32 v39, 0x388b, v8
	v_add_f16_e32 v36, v36, v61
	v_add_f16_e32 v14, v14, v33
	;; [unrolled: 1-line block ×4, first 2 shown]
	v_mul_f16_e32 v33, 0x33a8, v51
	v_fmamk_f16 v40, v9, 0x3a95, v39
	v_fmac_f16_e32 v39, 0xba95, v9
	v_mul_f16_e32 v52, 0xbbc4, v8
	v_add_f16_e32 v36, v53, v36
	v_fma_f16 v35, v54, 0x388b, -v35
	v_fmamk_f16 v53, v54, 0xbbc4, v33
	v_add_f16_e32 v40, v40, v43
	v_add_f16_e32 v37, v39, v37
	v_fmamk_f16 v39, v9, 0xb3a8, v52
	v_mul_f16_e32 v43, 0x3770, v51
	v_fma_f16 v33, v54, 0xbbc4, -v33
	v_fmac_f16_e32 v52, 0x33a8, v9
	v_add_f16_e32 v35, v35, v42
	v_add_f16_e32 v42, v53, v44
	;; [unrolled: 1-line block ×3, first 2 shown]
	v_mul_f16_e32 v44, 0x3b15, v8
	v_fmamk_f16 v45, v54, 0x3b15, v43
	v_add_f16_e32 v33, v33, v34
	v_add_f16_e32 v34, v52, v41
	v_mul_f16_e32 v41, 0xbb7b, v51
	v_fma_f16 v43, v54, 0x3b15, -v43
	v_fmamk_f16 v51, v9, 0xb770, v44
	v_add_f16_e32 v45, v45, v46
	v_fmac_f16_e32 v44, 0x3770, v9
	v_fmamk_f16 v46, v54, 0xb5ac, v41
	v_mul_f16_e32 v8, 0xb5ac, v8
	v_add_f16_e32 v43, v43, v48
	v_sub_f16_e32 v48, v6, v7
	v_add_f16_e32 v6, v6, v7
	v_add_f16_e32 v44, v44, v50
	;; [unrolled: 1-line block ×3, first 2 shown]
	v_fmamk_f16 v49, v9, 0x3b7b, v8
	v_add_f16_e32 v7, v4, v5
	v_mul_f16_e32 v50, 0xb3a8, v48
	v_fmac_f16_e32 v8, 0xbb7b, v9
	v_sub_f16_e32 v4, v4, v5
	v_mul_f16_e32 v5, 0xbbc4, v6
	v_fma_f16 v41, v54, 0xb5ac, -v41
	v_add_f16_e32 v9, v49, v36
	v_fmamk_f16 v36, v7, 0xbbc4, v50
	v_add_f16_e32 v1, v8, v1
	v_fmamk_f16 v8, v4, 0x33a8, v5
	v_fmac_f16_e32 v5, 0xb3a8, v4
	v_add_f16_e32 v3, v41, v3
	v_mul_f16_e32 v41, 0x3770, v48
	v_add_f16_e32 v2, v36, v2
	v_fma_f16 v36, v7, 0xbbc4, -v50
	v_add_f16_e32 v5, v5, v13
	v_mul_f16_e32 v13, 0xb94e, v48
	v_add_f16_e32 v8, v8, v11
	v_fmamk_f16 v11, v7, 0x3b15, v41
	v_mul_f16_e32 v49, 0x3b15, v6
	v_add_f16_e32 v10, v36, v10
	v_fma_f16 v36, v7, 0x3b15, -v41
	v_fmamk_f16 v41, v7, 0xb9fd, v13
	v_mul_f16_e32 v50, 0xb9fd, v6
	v_add_f16_e32 v11, v11, v16
	v_fmamk_f16 v16, v4, 0xb770, v49
	v_fmac_f16_e32 v49, 0x3770, v4
	v_add_f16_e32 v14, v36, v14
	v_add_f16_e32 v32, v41, v32
	v_fmamk_f16 v36, v4, 0x394e, v50
	v_fma_f16 v13, v7, 0xb9fd, -v13
	v_fmac_f16_e32 v50, 0xb94e, v4
	v_mul_f16_e32 v41, 0x388b, v6
	v_add_f16_e32 v16, v16, v38
	v_mul_f16_e32 v38, 0x3a95, v48
	v_add_f16_e32 v15, v49, v15
	v_add_f16_e32 v13, v13, v35
	;; [unrolled: 1-line block ×3, first 2 shown]
	v_fmamk_f16 v37, v4, 0xba95, v41
	v_mul_f16_e32 v49, 0xbb7b, v48
	v_add_f16_e32 v56, v56, v60
	v_add_f16_e32 v36, v36, v40
	v_fmamk_f16 v40, v7, 0x388b, v38
	v_fma_f16 v38, v7, 0x388b, -v38
	v_add_f16_e32 v37, v37, v39
	v_fmamk_f16 v39, v7, 0xb5ac, v49
	v_add_f16_e32 v47, v47, v56
	v_add_f16_e32 v40, v40, v42
	v_fmac_f16_e32 v41, 0x3a95, v4
	v_mul_f16_e32 v42, 0xb5ac, v6
	v_add_f16_e32 v33, v38, v33
	v_mul_f16_e32 v38, 0x3bf1, v48
	v_add_f16_e32 v39, v39, v45
	v_fma_f16 v45, v7, 0xb5ac, -v49
	v_mul_f16_e32 v6, 0x2fb7, v6
	v_add_f16_e32 v47, v51, v47
	v_add_f16_e32 v34, v41, v34
	v_fmamk_f16 v41, v4, 0x3b7b, v42
	v_fmac_f16_e32 v42, 0xbb7b, v4
	v_fmamk_f16 v48, v7, 0x2fb7, v38
	v_add_f16_e32 v43, v45, v43
	v_fmamk_f16 v45, v4, 0xbbf1, v6
	v_fma_f16 v7, v7, 0x2fb7, -v38
	v_fmac_f16_e32 v6, 0x3bf1, v4
	v_add_f16_e32 v41, v41, v47
	v_pack_b32_f16 v2, v2, v8
	v_add_f16_e32 v42, v42, v44
	v_add_f16_e32 v44, v48, v46
	v_pack_b32_f16 v4, v11, v16
	v_pack_b32_f16 v8, v32, v36
	v_add_f16_e32 v9, v45, v9
	v_add_f16_e32 v3, v7, v3
	;; [unrolled: 1-line block ×3, first 2 shown]
	ds_write2_b32 v19, v0, v2 offset1:13
	ds_write2_b32 v19, v4, v8 offset0:26 offset1:39
	v_pack_b32_f16 v0, v40, v37
	v_pack_b32_f16 v2, v39, v41
	v_pack_b32_f16 v4, v44, v9
	v_pack_b32_f16 v1, v3, v1
	v_pack_b32_f16 v3, v43, v42
	v_pack_b32_f16 v6, v33, v34
	v_pack_b32_f16 v7, v13, v35
	v_pack_b32_f16 v8, v14, v15
	v_pack_b32_f16 v5, v10, v5
	ds_write2_b32 v19, v0, v2 offset0:52 offset1:65
	ds_write2_b32 v19, v4, v1 offset0:78 offset1:91
	;; [unrolled: 1-line block ×4, first 2 shown]
	ds_write_b32 v19, v5 offset:624
	s_waitcnt lgkmcnt(0)
	s_barrier
	buffer_gl0_inv
	ds_read2_b32 v[0:1], v19 offset1:13
	s_waitcnt lgkmcnt(0)
	v_lshrrev_b32_e32 v4, 16, v0
	v_lshrrev_b32_e32 v9, 16, v1
	v_mul_f16_sdwa v2, v31, v4 dst_sel:DWORD dst_unused:UNUSED_PAD src0_sel:WORD_1 src1_sel:DWORD
	v_mul_f16_sdwa v6, v30, v9 dst_sel:DWORD dst_unused:UNUSED_PAD src0_sel:WORD_1 src1_sel:DWORD
	v_fmac_f16_e32 v2, v31, v0
	v_mul_f16_sdwa v0, v31, v0 dst_sel:DWORD dst_unused:UNUSED_PAD src0_sel:WORD_1 src1_sel:DWORD
	v_fmac_f16_e32 v6, v30, v1
	v_mul_f16_sdwa v1, v30, v1 dst_sel:DWORD dst_unused:UNUSED_PAD src0_sel:WORD_1 src1_sel:DWORD
	v_cvt_f32_f16_e32 v2, v2
	v_fma_f16 v0, v31, v4, -v0
	v_cvt_f32_f16_e32 v6, v6
	v_fma_f16 v1, v30, v9, -v1
	v_cvt_f64_f32_e32 v[2:3], v2
	v_cvt_f32_f16_e32 v0, v0
	v_cvt_f64_f32_e32 v[4:5], v0
	v_mul_f64 v[2:3], v[2:3], s[2:3]
	v_mul_f64 v[4:5], v[4:5], s[2:3]
	v_and_or_b32 v0, 0x1ff, v3, v2
	v_lshrrev_b32_e32 v2, 8, v3
	v_bfe_u32 v8, v3, 20, 11
	v_cmp_ne_u32_e32 vcc_lo, 0, v0
	v_and_or_b32 v4, 0x1ff, v5, v4
	v_lshrrev_b32_e32 v7, 8, v5
	v_bfe_u32 v13, v5, 20, 11
	v_add_nc_u32_e32 v15, 0xfffffc10, v8
	v_cndmask_b32_e64 v0, 0, 1, vcc_lo
	v_cmp_ne_u32_e32 vcc_lo, 0, v4
	v_sub_nc_u32_e32 v14, 0x3f1, v13
	v_add_nc_u32_e32 v13, 0xfffffc10, v13
	v_and_or_b32 v2, 0xffe, v2, v0
	v_sub_nc_u32_e32 v0, 0x3f1, v8
	v_cndmask_b32_e64 v4, 0, 1, vcc_lo
	v_cmp_gt_i32_e64 s1, 1, v13
	v_or_b32_e32 v10, 0x1000, v2
	v_med3_i32 v0, v0, 0, 13
	v_and_or_b32 v4, 0xffe, v7, v4
	v_cvt_f64_f32_e32 v[6:7], v6
	v_lshrrev_b32_e32 v11, v0, v10
	v_or_b32_e32 v8, 0x1000, v4
	v_lshlrev_b32_e32 v0, v0, v11
	v_cmp_ne_u32_e32 vcc_lo, v0, v10
	v_med3_i32 v10, v14, 0, 13
	v_cndmask_b32_e64 v0, 0, 1, vcc_lo
	v_lshrrev_b32_e32 v14, v10, v8
	v_cmp_gt_i32_e32 vcc_lo, 1, v15
	v_or_b32_e32 v0, v11, v0
	v_lshl_or_b32 v11, v15, 12, v2
	v_cndmask_b32_e32 v11, v11, v0, vcc_lo
	v_lshlrev_b32_e32 v0, v10, v14
	v_cvt_f32_f16_e32 v10, v1
	v_and_b32_e32 v9, 7, v11
	v_cmp_ne_u32_e32 vcc_lo, v0, v8
	v_mul_f64 v[0:1], v[6:7], s[2:3]
	v_cvt_f64_f32_e32 v[6:7], v10
	v_lshrrev_b32_e32 v11, 2, v11
	v_cmp_eq_u32_e64 s0, 3, v9
	v_cndmask_b32_e64 v8, 0, 1, vcc_lo
	v_cmp_lt_i32_e32 vcc_lo, 5, v9
	v_or_b32_e32 v10, v14, v8
	v_lshl_or_b32 v14, v13, 12, v4
	s_or_b32 vcc_lo, s0, vcc_lo
	v_mad_u64_u32 v[8:9], null, s10, v12, 0
	v_cndmask_b32_e64 v14, v14, v10, s1
	v_add_co_ci_u32_e32 v10, vcc_lo, 0, v11, vcc_lo
	v_cmp_ne_u32_e32 vcc_lo, 0, v2
	v_cmp_eq_u32_e64 s1, 0x40f, v15
	v_and_b32_e32 v16, 7, v14
	v_mov_b32_e32 v2, v9
	v_and_or_b32 v0, 0x1ff, v1, v0
	v_cndmask_b32_e64 v11, 0, 1, vcc_lo
	v_cmp_gt_i32_e32 vcc_lo, 31, v15
	v_mul_f64 v[6:7], v[6:7], s[2:3]
	v_cmp_eq_u32_e64 s0, 3, v16
	v_lshrrev_b32_e32 v14, 2, v14
	v_lshl_or_b32 v11, v11, 9, 0x7c00
	v_cndmask_b32_e32 v30, 0x7c00, v10, vcc_lo
	v_cmp_lt_i32_e32 vcc_lo, 5, v16
	v_mad_u64_u32 v[9:10], null, s11, v12, v[2:3]
	v_lshrrev_b32_e32 v2, 8, v1
	v_cndmask_b32_e64 v15, v30, v11, s1
	v_cmp_ne_u32_e64 s1, 0, v0
	v_bfe_u32 v12, v1, 20, 11
	ds_read2_b32 v[10:11], v19 offset0:26 offset1:39
	s_or_b32 vcc_lo, s0, vcc_lo
	v_lshrrev_b32_e32 v16, 16, v3
	v_cndmask_b32_e64 v0, 0, 1, s1
	v_add_co_ci_u32_e32 v14, vcc_lo, 0, v14, vcc_lo
	v_cmp_ne_u32_e32 vcc_lo, 0, v4
	v_add_nc_u32_e32 v35, 0xfffffc10, v12
	v_and_or_b32 v30, 0xffe, v2, v0
	v_sub_nc_u32_e32 v0, 0x3f1, v12
	v_and_or_b32 v6, 0x1ff, v7, v6
	v_cndmask_b32_e64 v4, 0, 1, vcc_lo
	v_cmp_gt_i32_e32 vcc_lo, 31, v13
	v_or_b32_e32 v31, 0x1000, v30
	v_med3_i32 v0, v0, 0, 13
	v_bfe_u32 v34, v7, 20, 11
	v_lshl_or_b32 v4, v4, 9, 0x7c00
	v_cndmask_b32_e32 v14, 0x7c00, v14, vcc_lo
	v_cmp_eq_u32_e32 vcc_lo, 0x40f, v13
	v_lshrrev_b32_e32 v32, v0, v31
	s_waitcnt lgkmcnt(0)
	v_lshrrev_b32_e32 v33, 16, v10
	v_lshrrev_b32_e32 v13, 8, v7
	v_mad_u64_u32 v[2:3], null, s8, v28, 0
	v_lshlrev_b32_e32 v0, v0, v32
	v_cndmask_b32_e32 v14, v14, v4, vcc_lo
	v_cmp_ne_u32_e32 vcc_lo, 0, v6
	v_mul_f16_sdwa v6, v29, v33 dst_sel:DWORD dst_unused:UNUSED_PAD src0_sel:WORD_1 src1_sel:DWORD
	v_lshlrev_b64 v[8:9], 2, v[8:9]
	v_cndmask_b32_e64 v4, 0, 1, vcc_lo
	v_cmp_ne_u32_e32 vcc_lo, v0, v31
	v_fmac_f16_e32 v6, v29, v10
	v_mul_f16_sdwa v10, v29, v10 dst_sel:DWORD dst_unused:UNUSED_PAD src0_sel:WORD_1 src1_sel:DWORD
	v_and_or_b32 v31, 0xffe, v13, v4
	v_cndmask_b32_e64 v0, 0, 1, vcc_lo
	v_sub_nc_u32_e32 v4, 0x3f1, v34
	v_cvt_f32_f16_e32 v6, v6
	v_lshl_or_b32 v13, v35, 12, v30
	v_cmp_gt_i32_e32 vcc_lo, 1, v35
	v_or_b32_e32 v12, v32, v0
	v_or_b32_e32 v32, 0x1000, v31
	v_med3_i32 v36, v4, 0, 13
	v_mov_b32_e32 v0, v3
	v_lshrrev_b32_e32 v3, 16, v5
	v_cvt_f64_f32_e32 v[4:5], v6
	v_cndmask_b32_e32 v37, v13, v12, vcc_lo
	v_lshrrev_b32_e32 v6, v36, v32
	v_mad_u64_u32 v[12:13], null, s9, v28, v[0:1]
	v_and_or_b32 v0, 0x8000, v16, v15
	v_and_b32_e32 v15, 7, v37
	v_lshlrev_b32_e32 v13, v36, v6
	v_and_or_b32 v14, 0x8000, v3, v14
	v_fma_f16 v10, v29, v33, -v10
	v_add_nc_u32_e32 v16, 0xfffffc10, v34
	v_mov_b32_e32 v3, v12
	v_cmp_ne_u32_e64 s0, v13, v32
	v_cmp_lt_i32_e32 vcc_lo, 5, v15
	v_lshrrev_b32_e32 v13, 2, v37
	v_cvt_f32_f16_e32 v10, v10
	v_and_b32_e32 v0, 0xffff, v0
	v_cndmask_b32_e64 v12, 0, 1, s0
	v_cmp_eq_u32_e64 s0, 3, v15
	v_lshl_or_b32 v15, v16, 12, v31
	v_lshrrev_b32_e32 v29, 16, v11
	v_lshl_or_b32 v14, v14, 16, v0
	v_or_b32_e32 v6, v6, v12
	s_or_b32 vcc_lo, s0, vcc_lo
	v_mul_f64 v[4:5], v[4:5], s[2:3]
	v_add_co_ci_u32_e32 v28, vcc_lo, 0, v13, vcc_lo
	v_cmp_ne_u32_e32 vcc_lo, 0, v30
	v_cvt_f64_f32_e32 v[12:13], v10
	v_mul_f16_sdwa v30, v27, v29 dst_sel:DWORD dst_unused:UNUSED_PAD src0_sel:WORD_1 src1_sel:DWORD
	v_cndmask_b32_e64 v10, 0, 1, vcc_lo
	v_cmp_gt_i32_e32 vcc_lo, 1, v16
	v_fmac_f16_e32 v30, v27, v11
	v_mul_f16_sdwa v11, v27, v11 dst_sel:DWORD dst_unused:UNUSED_PAD src0_sel:WORD_1 src1_sel:DWORD
	v_lshl_or_b32 v10, v10, 9, 0x7c00
	v_cndmask_b32_e32 v6, v15, v6, vcc_lo
	v_cmp_gt_i32_e32 vcc_lo, 31, v35
	v_fma_f16 v11, v27, v29, -v11
	v_and_b32_e32 v15, 7, v6
	v_cndmask_b32_e32 v0, 0x7c00, v28, vcc_lo
	v_add_co_u32 v8, vcc_lo, s4, v8
	v_add_co_ci_u32_e32 v9, vcc_lo, s5, v9, vcc_lo
	v_cmp_eq_u32_e32 vcc_lo, 0x40f, v35
	v_cmp_eq_u32_e64 s0, 3, v15
	v_lshrrev_b32_e32 v6, 2, v6
	v_and_or_b32 v4, 0x1ff, v5, v4
	v_bfe_u32 v28, v5, 20, 11
	v_cndmask_b32_e32 v10, v0, v10, vcc_lo
	v_cmp_lt_i32_e32 vcc_lo, 5, v15
	v_lshrrev_b32_e32 v15, 16, v1
	v_lshlrev_b64 v[0:1], 2, v[2:3]
	v_mul_f64 v[2:3], v[12:13], s[2:3]
	v_lshrrev_b32_e32 v13, 8, v5
	s_or_b32 vcc_lo, s0, vcc_lo
	v_and_or_b32 v10, 0x8000, v15, v10
	v_add_co_ci_u32_e32 v6, vcc_lo, 0, v6, vcc_lo
	v_cmp_ne_u32_e32 vcc_lo, 0, v31
	v_cvt_f32_f16_e32 v11, v11
	v_and_b32_e32 v10, 0xffff, v10
	s_mul_i32 s0, s9, 52
	s_mul_hi_u32 s4, s8, 52
	v_cndmask_b32_e64 v12, 0, 1, vcc_lo
	v_cmp_ne_u32_e32 vcc_lo, 0, v4
	s_add_i32 s4, s4, s0
	s_mul_i32 s5, s8, 52
	v_lshrrev_b32_e32 v5, 16, v5
	v_lshl_or_b32 v12, v12, 9, 0x7c00
	v_cndmask_b32_e64 v4, 0, 1, vcc_lo
	v_cmp_gt_i32_e32 vcc_lo, 31, v16
	v_and_or_b32 v4, 0xffe, v13, v4
	v_sub_nc_u32_e32 v13, 0x3f1, v28
	v_cndmask_b32_e32 v6, 0x7c00, v6, vcc_lo
	v_and_or_b32 v2, 0x1ff, v3, v2
	v_cmp_eq_u32_e32 vcc_lo, 0x40f, v16
	v_or_b32_e32 v15, 0x1000, v4
	v_med3_i32 v13, v13, 0, 13
	v_lshrrev_b32_e32 v31, 8, v3
	v_bfe_u32 v32, v3, 20, 11
	v_cndmask_b32_e32 v12, v6, v12, vcc_lo
	v_cvt_f32_f16_e32 v6, v30
	v_lshrrev_b32_e32 v30, v13, v15
	v_cmp_ne_u32_e32 vcc_lo, 0, v2
	v_lshrrev_b32_e32 v16, 16, v7
	v_cvt_f64_f32_e32 v[6:7], v6
	v_cndmask_b32_e64 v2, 0, 1, vcc_lo
	v_add_co_u32 v0, vcc_lo, v8, v0
	v_lshlrev_b32_e32 v8, v13, v30
	v_add_co_ci_u32_e32 v1, vcc_lo, v9, v1, vcc_lo
	v_and_or_b32 v2, 0xffe, v31, v2
	v_sub_nc_u32_e32 v9, 0x3f1, v32
	v_cmp_ne_u32_e32 vcc_lo, v8, v15
	v_and_or_b32 v12, 0x8000, v16, v12
	v_add_nc_u32_e32 v15, 0xfffffc10, v28
	v_or_b32_e32 v13, 0x1000, v2
	v_med3_i32 v16, v9, 0, 13
	v_cndmask_b32_e64 v8, 0, 1, vcc_lo
	global_store_dword v[0:1], v14, off
	v_lshl_or_b32 v9, v15, 12, v4
	v_cmp_gt_i32_e32 vcc_lo, 1, v15
	v_lshrrev_b32_e32 v14, v16, v13
	v_or_b32_e32 v8, v30, v8
	v_lshl_or_b32 v12, v12, 16, v10
	v_mul_f64 v[6:7], v[6:7], s[2:3]
	v_add_nc_u32_e32 v28, 0xfffffc10, v32
	v_cndmask_b32_e32 v27, v9, v8, vcc_lo
	v_cvt_f64_f32_e32 v[8:9], v11
	v_lshlrev_b32_e32 v11, v16, v14
	v_and_b32_e32 v16, 7, v27
	v_cmp_ne_u32_e32 vcc_lo, v11, v13
	v_lshrrev_b32_e32 v11, 2, v27
	v_cmp_eq_u32_e64 s0, 3, v16
	v_cndmask_b32_e64 v10, 0, 1, vcc_lo
	v_cmp_lt_i32_e32 vcc_lo, 5, v16
	v_or_b32_e32 v13, v14, v10
	s_or_b32 vcc_lo, s0, vcc_lo
	v_lshl_or_b32 v14, v28, 12, v2
	v_add_co_ci_u32_e32 v16, vcc_lo, 0, v11, vcc_lo
	v_cmp_ne_u32_e32 vcc_lo, 0, v4
	ds_read2_b32 v[10:11], v19 offset0:52 offset1:65
	v_and_or_b32 v6, 0x1ff, v7, v6
	v_mul_f64 v[8:9], v[8:9], s[2:3]
	v_bfe_u32 v27, v7, 20, 11
	v_cndmask_b32_e64 v4, 0, 1, vcc_lo
	v_add_co_u32 v0, vcc_lo, v0, s5
	v_add_co_ci_u32_e32 v1, vcc_lo, s4, v1, vcc_lo
	v_cmp_gt_i32_e32 vcc_lo, 1, v28
	v_lshl_or_b32 v4, v4, 9, 0x7c00
	global_store_dword v[0:1], v12, off
	v_sub_nc_u32_e32 v12, 0x3f1, v27
	v_cndmask_b32_e32 v13, v14, v13, vcc_lo
	v_cmp_gt_i32_e32 vcc_lo, 31, v15
	v_add_nc_u32_e32 v27, 0xfffffc10, v27
	v_med3_i32 v12, v12, 0, 13
	v_and_b32_e32 v29, 7, v13
	v_cndmask_b32_e32 v14, 0x7c00, v16, vcc_lo
	v_cmp_ne_u32_e32 vcc_lo, 0, v6
	v_lshrrev_b32_e32 v16, 8, v7
	v_lshrrev_b32_e32 v13, 2, v13
	v_cmp_eq_u32_e64 s0, 3, v29
	v_and_or_b32 v8, 0x1ff, v9, v8
	v_cndmask_b32_e64 v6, 0, 1, vcc_lo
	v_cmp_eq_u32_e32 vcc_lo, 0x40f, v15
	s_waitcnt lgkmcnt(0)
	v_lshrrev_b32_e32 v15, 16, v10
	v_bfe_u32 v31, v9, 20, 11
	v_and_or_b32 v6, 0xffe, v16, v6
	v_cndmask_b32_e32 v4, v14, v4, vcc_lo
	v_cmp_lt_i32_e32 vcc_lo, 5, v29
	v_mul_f16_sdwa v16, v26, v15 dst_sel:DWORD dst_unused:UNUSED_PAD src0_sel:WORD_1 src1_sel:DWORD
	v_or_b32_e32 v14, 0x1000, v6
	s_or_b32 vcc_lo, s0, vcc_lo
	v_fmac_f16_e32 v16, v26, v10
	v_add_co_ci_u32_e32 v13, vcc_lo, 0, v13, vcc_lo
	v_cmp_ne_u32_e32 vcc_lo, 0, v2
	v_lshrrev_b32_e32 v29, v12, v14
	v_mul_f16_sdwa v10, v26, v10 dst_sel:DWORD dst_unused:UNUSED_PAD src0_sel:WORD_1 src1_sel:DWORD
	v_cndmask_b32_e64 v2, 0, 1, vcc_lo
	v_cmp_ne_u32_e32 vcc_lo, 0, v8
	v_lshlrev_b32_e32 v30, v12, v29
	v_cvt_f32_f16_e32 v12, v16
	v_lshrrev_b32_e32 v16, 8, v9
	v_lshl_or_b32 v2, v2, 9, 0x7c00
	v_cndmask_b32_e64 v8, 0, 1, vcc_lo
	v_cmp_gt_i32_e32 vcc_lo, 31, v28
	v_fma_f16 v10, v26, v15, -v10
	v_lshrrev_b32_e32 v26, 16, v3
	v_lshrrev_b32_e32 v9, 16, v9
	v_and_or_b32 v8, 0xffe, v16, v8
	v_cndmask_b32_e32 v32, 0x7c00, v13, vcc_lo
	v_cvt_f64_f32_e32 v[12:13], v12
	v_cmp_ne_u32_e32 vcc_lo, v30, v14
	v_sub_nc_u32_e32 v16, 0x3f1, v31
	v_or_b32_e32 v30, 0x1000, v8
	v_cvt_f32_f16_e32 v10, v10
	v_cndmask_b32_e64 v14, 0, 1, vcc_lo
	v_med3_i32 v16, v16, 0, 13
	v_cmp_gt_i32_e32 vcc_lo, 1, v27
	v_or_b32_e32 v14, v29, v14
	v_lshl_or_b32 v29, v27, 12, v6
	v_lshrrev_b32_e32 v33, v16, v30
	v_cndmask_b32_e32 v14, v29, v14, vcc_lo
	v_cmp_eq_u32_e32 vcc_lo, 0x40f, v28
	v_and_b32_e32 v28, 7, v14
	v_cndmask_b32_e32 v15, v32, v2, vcc_lo
	v_mul_f64 v[2:3], v[12:13], s[2:3]
	v_lshlrev_b32_e32 v12, v16, v33
	v_and_or_b32 v13, 0x8000, v5, v4
	v_cvt_f64_f32_e32 v[4:5], v10
	v_cmp_lt_i32_e32 vcc_lo, 5, v28
	v_lshrrev_b32_e32 v14, 2, v14
	v_cmp_ne_u32_e64 s0, v12, v30
	v_and_or_b32 v10, 0x8000, v26, v15
	v_add_nc_u32_e32 v15, 0xfffffc10, v31
	v_and_b32_e32 v13, 0xffff, v13
	v_cndmask_b32_e64 v12, 0, 1, s0
	v_cmp_eq_u32_e64 s0, 3, v28
	v_lshl_or_b32 v16, v15, 12, v8
	v_lshl_or_b32 v10, v10, 16, v13
	v_or_b32_e32 v12, v33, v12
	s_or_b32 vcc_lo, s0, vcc_lo
	v_add_co_ci_u32_e32 v14, vcc_lo, 0, v14, vcc_lo
	v_cmp_ne_u32_e32 vcc_lo, 0, v6
	v_and_or_b32 v2, 0x1ff, v3, v2
	v_bfe_u32 v26, v3, 20, 11
	v_mul_f64 v[4:5], v[4:5], s[2:3]
	v_cndmask_b32_e64 v6, 0, 1, vcc_lo
	v_cmp_gt_i32_e32 vcc_lo, 1, v15
	v_lshl_or_b32 v6, v6, 9, 0x7c00
	v_cndmask_b32_e32 v12, v16, v12, vcc_lo
	v_cmp_gt_i32_e32 vcc_lo, 31, v27
	v_lshrrev_b32_e32 v16, 8, v3
	v_and_b32_e32 v28, 7, v12
	v_cndmask_b32_e32 v13, 0x7c00, v14, vcc_lo
	v_cmp_ne_u32_e32 vcc_lo, 0, v2
	v_lshrrev_b32_e32 v14, 16, v11
	v_lshrrev_b32_e32 v12, 2, v12
	v_cmp_eq_u32_e64 s0, 3, v28
	v_cndmask_b32_e64 v2, 0, 1, vcc_lo
	v_add_co_u32 v0, vcc_lo, v0, s5
	v_add_co_ci_u32_e32 v1, vcc_lo, s4, v1, vcc_lo
	v_cmp_eq_u32_e32 vcc_lo, 0x40f, v27
	v_mul_f16_sdwa v29, v25, v14 dst_sel:DWORD dst_unused:UNUSED_PAD src0_sel:WORD_1 src1_sel:DWORD
	v_and_or_b32 v2, 0xffe, v16, v2
	v_sub_nc_u32_e32 v16, 0x3f1, v26
	v_and_or_b32 v4, 0x1ff, v5, v4
	v_cndmask_b32_e32 v13, v13, v6, vcc_lo
	v_cmp_lt_i32_e32 vcc_lo, 5, v28
	v_fmac_f16_e32 v29, v25, v11
	v_or_b32_e32 v30, 0x1000, v2
	v_med3_i32 v16, v16, 0, 13
	v_lshrrev_b32_e32 v27, 16, v7
	s_or_b32 vcc_lo, s0, vcc_lo
	v_cvt_f32_f16_e32 v6, v29
	v_add_co_ci_u32_e32 v12, vcc_lo, 0, v12, vcc_lo
	v_cmp_ne_u32_e32 vcc_lo, 0, v4
	v_lshrrev_b32_e32 v29, v16, v30
	v_cvt_f64_f32_e32 v[6:7], v6
	v_lshrrev_b32_e32 v28, 8, v5
	v_bfe_u32 v31, v5, 20, 11
	v_cndmask_b32_e64 v4, 0, 1, vcc_lo
	v_cmp_ne_u32_e32 vcc_lo, 0, v8
	v_lshlrev_b32_e32 v16, v16, v29
	v_add_nc_u32_e32 v26, 0xfffffc10, v26
	v_mul_f16_sdwa v11, v25, v11 dst_sel:DWORD dst_unused:UNUSED_PAD src0_sel:WORD_1 src1_sel:DWORD
	v_and_or_b32 v4, 0xffe, v28, v4
	v_cndmask_b32_e64 v8, 0, 1, vcc_lo
	v_cmp_gt_i32_e32 vcc_lo, 31, v15
	v_sub_nc_u32_e32 v28, 0x3f1, v31
	v_fma_f16 v11, v25, v14, -v11
	global_store_dword v[0:1], v10, off
	v_lshl_or_b32 v8, v8, 9, 0x7c00
	v_cndmask_b32_e32 v12, 0x7c00, v12, vcc_lo
	v_cmp_ne_u32_e32 vcc_lo, v16, v30
	v_or_b32_e32 v30, 0x1000, v4
	v_med3_i32 v28, v28, 0, 13
	v_cvt_f32_f16_e32 v11, v11
	v_lshrrev_b32_e32 v5, 16, v5
	v_cndmask_b32_e64 v16, 0, 1, vcc_lo
	v_cmp_gt_i32_e32 vcc_lo, 1, v26
	v_lshrrev_b32_e32 v32, v28, v30
	v_mul_f64 v[6:7], v[6:7], s[2:3]
	v_or_b32_e32 v16, v29, v16
	v_lshl_or_b32 v29, v26, 12, v2
	v_lshlrev_b32_e32 v14, v28, v32
	v_cndmask_b32_e32 v16, v29, v16, vcc_lo
	v_cmp_eq_u32_e32 vcc_lo, 0x40f, v15
	v_cmp_ne_u32_e64 s0, v14, v30
	v_lshrrev_b32_e32 v14, 2, v16
	v_cndmask_b32_e32 v8, v12, v8, vcc_lo
	v_and_or_b32 v12, 0x8000, v27, v13
	v_and_b32_e32 v13, 7, v16
	v_and_or_b32 v15, 0x8000, v9, v8
	v_cvt_f64_f32_e32 v[8:9], v11
	v_cmp_lt_i32_e32 vcc_lo, 5, v13
	v_cndmask_b32_e64 v11, 0, 1, s0
	v_cmp_eq_u32_e64 s0, 3, v13
	v_add_nc_u32_e32 v13, 0xfffffc10, v31
	v_and_or_b32 v6, 0x1ff, v7, v6
	v_and_b32_e32 v12, 0xffff, v12
	v_or_b32_e32 v16, v32, v11
	s_or_b32 vcc_lo, s0, vcc_lo
	v_lshl_or_b32 v25, v13, 12, v4
	v_add_co_ci_u32_e32 v14, vcc_lo, 0, v14, vcc_lo
	v_cmp_ne_u32_e32 vcc_lo, 0, v2
	ds_read2_b32 v[10:11], v19 offset0:78 offset1:91
	v_bfe_u32 v27, v7, 20, 11
	v_lshl_or_b32 v12, v15, 16, v12
	v_cndmask_b32_e64 v2, 0, 1, vcc_lo
	v_cmp_gt_i32_e32 vcc_lo, 1, v13
	v_mul_f64 v[8:9], v[8:9], s[2:3]
	v_cndmask_b32_e32 v16, v25, v16, vcc_lo
	v_cmp_ne_u32_e32 vcc_lo, 0, v6
	v_lshl_or_b32 v2, v2, 9, 0x7c00
	v_lshrrev_b32_e32 v25, 8, v7
	v_lshrrev_b32_e32 v7, 16, v7
	v_and_b32_e32 v28, 7, v16
	v_cndmask_b32_e64 v6, 0, 1, vcc_lo
	v_cmp_gt_i32_e32 vcc_lo, 31, v26
	v_cmp_eq_u32_e64 s0, 3, v28
	v_and_or_b32 v6, 0xffe, v25, v6
	v_cndmask_b32_e32 v14, 0x7c00, v14, vcc_lo
	v_cmp_eq_u32_e32 vcc_lo, 0x40f, v26
	v_sub_nc_u32_e32 v25, 0x3f1, v27
	s_waitcnt lgkmcnt(0)
	v_lshrrev_b32_e32 v15, 16, v10
	v_or_b32_e32 v26, 0x1000, v6
	v_add_nc_u32_e32 v27, 0xfffffc10, v27
	v_cndmask_b32_e32 v14, v14, v2, vcc_lo
	v_cmp_lt_i32_e32 vcc_lo, 5, v28
	v_lshrrev_b32_e32 v28, 16, v3
	v_lshrrev_b32_e32 v3, 2, v16
	v_med3_i32 v2, v25, 0, 13
	v_mul_f16_sdwa v25, v24, v15 dst_sel:DWORD dst_unused:UNUSED_PAD src0_sel:WORD_1 src1_sel:DWORD
	s_or_b32 vcc_lo, s0, vcc_lo
	v_and_or_b32 v8, 0x1ff, v9, v8
	v_add_co_ci_u32_e32 v3, vcc_lo, 0, v3, vcc_lo
	v_cmp_ne_u32_e32 vcc_lo, 0, v4
	v_fmac_f16_e32 v25, v24, v10
	v_lshrrev_b32_e32 v16, v2, v26
	v_bfe_u32 v31, v9, 20, 11
	v_mul_f16_sdwa v10, v24, v10 dst_sel:DWORD dst_unused:UNUSED_PAD src0_sel:WORD_1 src1_sel:DWORD
	v_cndmask_b32_e64 v4, 0, 1, vcc_lo
	v_cmp_gt_i32_e32 vcc_lo, 31, v13
	v_cvt_f32_f16_e32 v25, v25
	v_lshlrev_b32_e32 v29, v2, v16
	v_fma_f16 v10, v24, v15, -v10
	v_lshl_or_b32 v4, v4, 9, 0x7c00
	v_cndmask_b32_e32 v30, 0x7c00, v3, vcc_lo
	v_cmp_ne_u32_e32 vcc_lo, 0, v8
	v_cvt_f64_f32_e32 v[2:3], v25
	v_lshrrev_b32_e32 v25, 8, v9
	v_and_or_b32 v14, 0x8000, v28, v14
	v_lshrrev_b32_e32 v9, 16, v9
	v_cndmask_b32_e64 v8, 0, 1, vcc_lo
	v_cmp_ne_u32_e32 vcc_lo, v29, v26
	v_and_b32_e32 v14, 0xffff, v14
	v_and_or_b32 v8, 0xffe, v25, v8
	v_sub_nc_u32_e32 v25, 0x3f1, v31
	v_cndmask_b32_e64 v26, 0, 1, vcc_lo
	v_cmp_eq_u32_e32 vcc_lo, 0x40f, v13
	v_or_b32_e32 v29, 0x1000, v8
	v_med3_i32 v25, v25, 0, 13
	v_or_b32_e32 v16, v16, v26
	v_lshl_or_b32 v26, v27, 12, v6
	v_cndmask_b32_e32 v4, v30, v4, vcc_lo
	v_cmp_gt_i32_e32 vcc_lo, 1, v27
	v_lshrrev_b32_e32 v13, v25, v29
	v_mul_f64 v[2:3], v[2:3], s[2:3]
	v_and_or_b32 v15, 0x8000, v5, v4
	v_cndmask_b32_e32 v16, v26, v16, vcc_lo
	v_lshlrev_b32_e32 v25, v25, v13
	v_add_co_u32 v0, vcc_lo, v0, s5
	v_add_co_ci_u32_e32 v1, vcc_lo, s4, v1, vcc_lo
	v_and_b32_e32 v26, 7, v16
	v_cmp_ne_u32_e64 s0, v25, v29
	v_cvt_f32_f16_e32 v4, v10
	v_lshrrev_b32_e32 v16, 2, v16
	global_store_dword v[0:1], v12, off
	v_cmp_lt_i32_e32 vcc_lo, 5, v26
	v_cndmask_b32_e64 v10, 0, 1, s0
	v_cmp_eq_u32_e64 s0, 3, v26
	v_cvt_f64_f32_e32 v[4:5], v4
	v_add_nc_u32_e32 v12, 0xfffffc10, v31
	v_lshl_or_b32 v14, v15, 16, v14
	v_or_b32_e32 v10, v13, v10
	s_or_b32 vcc_lo, s0, vcc_lo
	v_add_co_ci_u32_e32 v16, vcc_lo, 0, v16, vcc_lo
	v_cmp_ne_u32_e32 vcc_lo, 0, v6
	v_lshl_or_b32 v13, v12, 12, v8
	v_and_or_b32 v2, 0x1ff, v3, v2
	v_lshrrev_b32_e32 v15, 8, v3
	v_cndmask_b32_e64 v6, 0, 1, vcc_lo
	v_cmp_gt_i32_e32 vcc_lo, 1, v12
	v_lshl_or_b32 v6, v6, 9, 0x7c00
	v_cndmask_b32_e32 v10, v13, v10, vcc_lo
	v_cmp_gt_i32_e32 vcc_lo, 31, v27
	v_mul_f64 v[4:5], v[4:5], s[2:3]
	v_and_b32_e32 v24, 7, v10
	v_cndmask_b32_e32 v13, 0x7c00, v16, vcc_lo
	v_cmp_ne_u32_e32 vcc_lo, 0, v2
	v_lshrrev_b32_e32 v10, 2, v10
	v_bfe_u32 v16, v3, 20, 11
	v_cmp_eq_u32_e64 s0, 3, v24
	v_cndmask_b32_e64 v2, 0, 1, vcc_lo
	v_cmp_eq_u32_e32 vcc_lo, 0x40f, v27
	v_and_or_b32 v2, 0xffe, v15, v2
	v_cndmask_b32_e32 v6, v13, v6, vcc_lo
	v_cmp_lt_i32_e32 vcc_lo, 5, v24
	v_sub_nc_u32_e32 v13, 0x3f1, v16
	v_lshrrev_b32_e32 v24, 16, v11
	v_or_b32_e32 v15, 0x1000, v2
	v_and_or_b32 v27, 0x8000, v7, v6
	s_or_b32 vcc_lo, s0, vcc_lo
	v_med3_i32 v13, v13, 0, 13
	v_add_co_ci_u32_e32 v10, vcc_lo, 0, v10, vcc_lo
	v_cmp_ne_u32_e32 vcc_lo, 0, v8
	v_mul_f16_sdwa v25, v23, v24 dst_sel:DWORD dst_unused:UNUSED_PAD src0_sel:WORD_1 src1_sel:DWORD
	v_lshrrev_b32_e32 v26, v13, v15
	v_and_or_b32 v4, 0x1ff, v5, v4
	v_cndmask_b32_e64 v8, 0, 1, vcc_lo
	v_cmp_gt_i32_e32 vcc_lo, 31, v12
	v_fmac_f16_e32 v25, v23, v11
	v_lshlrev_b32_e32 v13, v13, v26
	v_mul_f16_sdwa v11, v23, v11 dst_sel:DWORD dst_unused:UNUSED_PAD src0_sel:WORD_1 src1_sel:DWORD
	v_lshl_or_b32 v8, v8, 9, 0x7c00
	v_cndmask_b32_e32 v10, 0x7c00, v10, vcc_lo
	v_cmp_eq_u32_e32 vcc_lo, 0x40f, v12
	v_cvt_f32_f16_e32 v25, v25
	v_bfe_u32 v12, v5, 20, 11
	v_fma_f16 v11, v23, v24, -v11
	v_cndmask_b32_e32 v8, v10, v8, vcc_lo
	v_cmp_ne_u32_e32 vcc_lo, 0, v4
	v_lshrrev_b32_e32 v10, 8, v5
	v_cvt_f64_f32_e32 v[6:7], v25
	v_cvt_f32_f16_e32 v11, v11
	v_and_or_b32 v8, 0x8000, v9, v8
	v_cndmask_b32_e64 v4, 0, 1, vcc_lo
	v_cmp_ne_u32_e32 vcc_lo, v13, v15
	v_add_nc_u32_e32 v15, 0xfffffc10, v16
	v_and_b32_e32 v9, 0xffff, v27
	v_lshrrev_b32_e32 v5, 16, v5
	v_and_or_b32 v4, 0xffe, v10, v4
	v_cndmask_b32_e64 v13, 0, 1, vcc_lo
	v_sub_nc_u32_e32 v10, 0x3f1, v12
	v_lshl_or_b32 v16, v15, 12, v2
	v_cmp_gt_i32_e32 vcc_lo, 1, v15
	v_or_b32_e32 v25, 0x1000, v4
	v_or_b32_e32 v13, v26, v13
	v_med3_i32 v10, v10, 0, 13
	v_lshl_or_b32 v24, v8, 16, v9
	v_cvt_f64_f32_e32 v[8:9], v11
	v_cndmask_b32_e32 v13, v16, v13, vcc_lo
	v_lshrrev_b32_e32 v16, v10, v25
	v_add_co_u32 v0, vcc_lo, v0, s5
	v_mul_f64 v[6:7], v[6:7], s[2:3]
	v_and_b32_e32 v23, 7, v13
	v_lshlrev_b32_e32 v10, v10, v16
	v_add_co_ci_u32_e32 v1, vcc_lo, s4, v1, vcc_lo
	v_lshrrev_b32_e32 v11, 2, v13
	v_cmp_lt_i32_e32 vcc_lo, 5, v23
	v_cmp_eq_u32_e64 s0, 3, v23
	v_cmp_ne_u32_e64 s1, v10, v25
	v_add_nc_u32_e32 v23, 0xfffffc10, v12
	global_store_dword v[0:1], v14, off
	s_or_b32 vcc_lo, s0, vcc_lo
	v_cndmask_b32_e64 v10, 0, 1, s1
	v_add_co_ci_u32_e32 v25, vcc_lo, 0, v11, vcc_lo
	v_cmp_ne_u32_e32 vcc_lo, 0, v2
	v_lshl_or_b32 v26, v23, 12, v4
	v_or_b32_e32 v16, v16, v10
	ds_read2_b32 v[10:11], v19 offset0:104 offset1:117
	v_mul_f64 v[8:9], v[8:9], s[2:3]
	v_cndmask_b32_e64 v2, 0, 1, vcc_lo
	v_add_co_u32 v12, vcc_lo, v0, s5
	v_add_co_ci_u32_e32 v13, vcc_lo, s4, v1, vcc_lo
	v_cmp_gt_i32_e32 vcc_lo, 1, v23
	v_and_or_b32 v6, 0x1ff, v7, v6
	v_lshl_or_b32 v2, v2, 9, 0x7c00
	v_lshrrev_b32_e32 v27, 8, v7
	v_bfe_u32 v28, v7, 20, 11
	v_cndmask_b32_e32 v16, v26, v16, vcc_lo
	v_cmp_gt_i32_e32 vcc_lo, 31, v15
	v_lshrrev_b32_e32 v7, 16, v7
	v_and_b32_e32 v26, 7, v16
	v_cndmask_b32_e32 v25, 0x7c00, v25, vcc_lo
	v_cmp_ne_u32_e32 vcc_lo, 0, v6
	s_waitcnt lgkmcnt(0)
	v_lshrrev_b32_e32 v29, 16, v10
	v_lshrrev_b32_e32 v16, 2, v16
	v_cmp_eq_u32_e64 s0, 3, v26
	v_and_or_b32 v8, 0x1ff, v9, v8
	v_cndmask_b32_e64 v6, 0, 1, vcc_lo
	v_cmp_eq_u32_e32 vcc_lo, 0x40f, v15
	v_lshrrev_b32_e32 v31, 8, v9
	v_bfe_u32 v32, v9, 20, 11
	v_lshrrev_b32_e32 v9, 16, v9
	v_and_or_b32 v6, 0xffe, v27, v6
	v_cndmask_b32_e32 v15, v25, v2, vcc_lo
	v_cmp_lt_i32_e32 vcc_lo, 5, v26
	v_mul_f16_sdwa v2, v22, v29 dst_sel:DWORD dst_unused:UNUSED_PAD src0_sel:WORD_1 src1_sel:DWORD
	v_lshrrev_b32_e32 v25, 16, v3
	v_sub_nc_u32_e32 v3, 0x3f1, v28
	v_or_b32_e32 v26, 0x1000, v6
	s_or_b32 vcc_lo, s0, vcc_lo
	v_fmac_f16_e32 v2, v22, v10
	v_add_co_ci_u32_e32 v16, vcc_lo, 0, v16, vcc_lo
	v_cmp_ne_u32_e32 vcc_lo, 0, v4
	v_med3_i32 v27, v3, 0, 13
	v_cvt_f32_f16_e32 v2, v2
	v_and_or_b32 v15, 0x8000, v25, v15
	v_mul_f16_sdwa v10, v22, v10 dst_sel:DWORD dst_unused:UNUSED_PAD src0_sel:WORD_1 src1_sel:DWORD
	v_cndmask_b32_e64 v4, 0, 1, vcc_lo
	v_cmp_ne_u32_e32 vcc_lo, 0, v8
	v_cvt_f64_f32_e32 v[2:3], v2
	v_lshrrev_b32_e32 v30, v27, v26
	v_fma_f16 v0, v22, v29, -v10
	v_lshl_or_b32 v4, v4, 9, 0x7c00
	v_cndmask_b32_e64 v8, 0, 1, vcc_lo
	v_cmp_gt_i32_e32 vcc_lo, 31, v23
	v_lshlrev_b32_e32 v27, v27, v30
	v_and_or_b32 v8, 0xffe, v31, v8
	v_cndmask_b32_e32 v16, 0x7c00, v16, vcc_lo
	v_cmp_eq_u32_e32 vcc_lo, 0x40f, v23
	v_sub_nc_u32_e32 v31, 0x3f1, v32
	v_add_nc_u32_e32 v23, 0xfffffc10, v28
	v_cndmask_b32_e32 v4, v16, v4, vcc_lo
	v_cmp_ne_u32_e32 vcc_lo, v27, v26
	v_or_b32_e32 v26, 0x1000, v8
	v_med3_i32 v27, v31, 0, 13
	v_lshl_or_b32 v25, v23, 12, v6
	v_and_or_b32 v4, 0x8000, v5, v4
	v_cndmask_b32_e64 v16, 0, 1, vcc_lo
	v_mul_f64 v[2:3], v[2:3], s[2:3]
	v_lshrrev_b32_e32 v28, v27, v26
	v_cmp_gt_i32_e32 vcc_lo, 1, v23
	v_and_b32_e32 v5, 0xffff, v15
	v_or_b32_e32 v16, v30, v16
	v_cndmask_b32_e32 v15, v25, v16, vcc_lo
	v_lshlrev_b32_e32 v16, v27, v28
	v_lshl_or_b32 v25, v4, 16, v5
	v_cvt_f32_f16_e32 v4, v0
	v_lshrrev_b32_e32 v27, 16, v11
	v_and_b32_e32 v10, 7, v15
	v_cmp_ne_u32_e32 vcc_lo, v16, v26
	v_add_nc_u32_e32 v16, 0xfffffc10, v32
	v_cvt_f64_f32_e32 v[4:5], v4
	v_mul_f16_sdwa v29, v21, v27 dst_sel:DWORD dst_unused:UNUSED_PAD src0_sel:WORD_1 src1_sel:DWORD
	v_cmp_eq_u32_e64 s0, 3, v10
	v_cndmask_b32_e64 v14, 0, 1, vcc_lo
	v_add_co_u32 v0, vcc_lo, v12, s5
	v_add_co_ci_u32_e32 v1, vcc_lo, s4, v13, vcc_lo
	v_cmp_lt_i32_e32 vcc_lo, 5, v10
	v_lshrrev_b32_e32 v10, 2, v15
	v_and_or_b32 v2, 0x1ff, v3, v2
	v_or_b32_e32 v14, v28, v14
	v_lshl_or_b32 v22, v16, 12, v8
	s_or_b32 vcc_lo, s0, vcc_lo
	v_cmp_gt_i32_e64 s1, 1, v16
	v_add_co_ci_u32_e32 v10, vcc_lo, 0, v10, vcc_lo
	v_cmp_ne_u32_e32 vcc_lo, 0, v2
	v_lshrrev_b32_e32 v15, 8, v3
	v_cndmask_b32_e64 v14, v22, v14, s1
	v_bfe_u32 v22, v3, 20, 11
	v_fmac_f16_e32 v29, v21, v11
	v_cndmask_b32_e64 v2, 0, 1, vcc_lo
	v_cmp_ne_u32_e32 vcc_lo, 0, v6
	v_and_b32_e32 v26, 7, v14
	v_lshrrev_b32_e32 v14, 2, v14
	v_mul_f64 v[4:5], v[4:5], s[2:3]
	v_and_or_b32 v2, 0xffe, v15, v2
	v_cndmask_b32_e64 v6, 0, 1, vcc_lo
	v_cmp_gt_i32_e32 vcc_lo, 31, v23
	v_cmp_eq_u32_e64 s0, 3, v26
	v_sub_nc_u32_e32 v15, 0x3f1, v22
	v_or_b32_e32 v28, 0x1000, v2
	v_cvt_f32_f16_e32 v29, v29
	v_cndmask_b32_e32 v10, 0x7c00, v10, vcc_lo
	v_cmp_lt_i32_e32 vcc_lo, 5, v26
	v_med3_i32 v15, v15, 0, 13
	v_lshl_or_b32 v6, v6, 9, 0x7c00
	global_store_dword v[12:13], v24, off
	global_store_dword v[0:1], v25, off
	v_mul_f16_sdwa v11, v21, v11 dst_sel:DWORD dst_unused:UNUSED_PAD src0_sel:WORD_1 src1_sel:DWORD
	s_or_b32 vcc_lo, s0, vcc_lo
	v_lshrrev_b32_e32 v26, v15, v28
	v_add_co_ci_u32_e32 v14, vcc_lo, 0, v14, vcc_lo
	v_cmp_ne_u32_e32 vcc_lo, 0, v8
	v_fma_f16 v11, v21, v27, -v11
	v_lshlrev_b32_e32 v30, v15, v26
	v_lshrrev_b32_e32 v3, 16, v3
	v_and_or_b32 v4, 0x1ff, v5, v4
	v_cndmask_b32_e64 v8, 0, 1, vcc_lo
	v_cmp_gt_i32_e32 vcc_lo, 31, v16
	v_cvt_f32_f16_e32 v11, v11
	v_lshl_or_b32 v8, v8, 9, 0x7c00
	v_cndmask_b32_e32 v31, 0x7c00, v14, vcc_lo
	v_cmp_eq_u32_e32 vcc_lo, 0x40f, v23
	v_cvt_f64_f32_e32 v[14:15], v29
	v_cndmask_b32_e32 v6, v10, v6, vcc_lo
	v_cmp_eq_u32_e32 vcc_lo, 0x40f, v16
	v_add_nc_u32_e32 v16, 0xfffffc10, v22
	v_bfe_u32 v22, v5, 20, 11
	v_and_or_b32 v6, 0x8000, v7, v6
	v_cndmask_b32_e32 v8, v31, v8, vcc_lo
	v_cmp_ne_u32_e32 vcc_lo, v30, v28
	v_lshrrev_b32_e32 v7, 8, v5
	v_lshl_or_b32 v23, v16, 12, v2
	v_lshrrev_b32_e32 v5, 16, v5
	v_and_or_b32 v8, 0x8000, v9, v8
	v_cndmask_b32_e64 v10, 0, 1, vcc_lo
	v_cmp_ne_u32_e32 vcc_lo, 0, v4
	v_sub_nc_u32_e32 v9, 0x3f1, v22
	v_or_b32_e32 v10, v26, v10
	v_cndmask_b32_e64 v4, 0, 1, vcc_lo
	v_and_b32_e32 v26, 0xffff, v6
	v_cmp_gt_i32_e32 vcc_lo, 1, v16
	v_and_or_b32 v4, 0xffe, v7, v4
	v_mul_f64 v[6:7], v[14:15], s[2:3]
	v_med3_i32 v15, v9, 0, 13
	v_cndmask_b32_e32 v10, v23, v10, vcc_lo
	v_lshl_or_b32 v12, v8, 16, v26
	v_or_b32_e32 v14, 0x1000, v4
	ds_read2_b32 v[8:9], v19 offset0:130 offset1:143
	v_add_co_u32 v0, vcc_lo, v0, s5
	v_and_b32_e32 v13, 7, v10
	v_lshrrev_b32_e32 v23, v15, v14
	v_add_co_ci_u32_e32 v1, vcc_lo, s4, v1, vcc_lo
	ds_read_b32 v19, v19 offset:624
	v_cmp_lt_i32_e32 vcc_lo, 5, v13
	v_lshlrev_b32_e32 v15, v15, v23
	v_cmp_eq_u32_e64 s0, 3, v13
	global_store_dword v[0:1], v12, off
	v_lshrrev_b32_e32 v12, 2, v10
	v_cvt_f64_f32_e32 v[10:11], v11
	v_cmp_ne_u32_e64 s1, v15, v14
	v_add_nc_u32_e32 v14, 0xfffffc10, v22
	s_or_b32 vcc_lo, s0, vcc_lo
	v_and_or_b32 v6, 0x1ff, v7, v6
	v_lshrrev_b32_e32 v21, 8, v7
	v_cndmask_b32_e64 v13, 0, 1, s1
	s_waitcnt lgkmcnt(1)
	v_lshrrev_b32_e32 v15, 16, v8
	v_bfe_u32 v22, v7, 20, 11
	v_cmp_ne_u32_e64 s1, 0, v6
	v_add_co_ci_u32_e32 v25, vcc_lo, 0, v12, vcc_lo
	v_or_b32_e32 v13, v23, v13
	v_lshl_or_b32 v23, v14, 12, v4
	v_cndmask_b32_e64 v6, 0, 1, s1
	v_cmp_gt_i32_e64 s1, 1, v14
	v_mul_f16_sdwa v24, v20, v15 dst_sel:DWORD dst_unused:UNUSED_PAD src0_sel:WORD_1 src1_sel:DWORD
	v_cmp_ne_u32_e32 vcc_lo, 0, v2
	v_lshrrev_b32_e32 v7, 16, v7
	v_and_or_b32 v6, 0xffe, v21, v6
	v_cndmask_b32_e64 v23, v23, v13, s1
	v_fmac_f16_e32 v24, v20, v8
	v_sub_nc_u32_e32 v21, 0x3f1, v22
	v_cndmask_b32_e64 v2, 0, 1, vcc_lo
	v_or_b32_e32 v26, 0x1000, v6
	v_and_b32_e32 v12, 7, v23
	v_cvt_f32_f16_e32 v13, v24
	v_lshrrev_b32_e32 v23, 2, v23
	v_med3_i32 v21, v21, 0, 13
	v_cmp_gt_i32_e64 s1, 31, v16
	v_cmp_lt_i32_e32 vcc_lo, 5, v12
	v_cmp_eq_u32_e64 s0, 3, v12
	v_mul_f64 v[10:11], v[10:11], s[2:3]
	v_cvt_f64_f32_e32 v[12:13], v13
	v_lshrrev_b32_e32 v24, v21, v26
	v_cndmask_b32_e64 v25, 0x7c00, v25, s1
	s_or_b32 vcc_lo, s0, vcc_lo
	v_lshl_or_b32 v2, v2, 9, 0x7c00
	v_add_co_ci_u32_e32 v23, vcc_lo, 0, v23, vcc_lo
	v_cmp_eq_u32_e32 vcc_lo, 0x40f, v16
	v_lshlrev_b32_e32 v21, v21, v24
	v_mul_f16_sdwa v8, v20, v8 dst_sel:DWORD dst_unused:UNUSED_PAD src0_sel:WORD_1 src1_sel:DWORD
	v_cndmask_b32_e32 v2, v25, v2, vcc_lo
	v_cmp_ne_u32_e32 vcc_lo, 0, v4
	v_and_or_b32 v2, 0x8000, v3, v2
	v_cndmask_b32_e64 v4, 0, 1, vcc_lo
	v_cmp_ne_u32_e32 vcc_lo, v21, v26
	v_add_nc_u32_e32 v21, 0xfffffc10, v22
	v_and_or_b32 v10, 0x1ff, v11, v10
	v_mul_f64 v[12:13], v[12:13], s[2:3]
	v_lshl_or_b32 v4, v4, 9, 0x7c00
	v_cndmask_b32_e64 v16, 0, 1, vcc_lo
	v_cmp_gt_i32_e32 vcc_lo, 31, v14
	v_fma_f16 v3, v20, v15, -v8
	v_and_b32_e32 v15, 0xffff, v2
	v_lshrrev_b32_e32 v26, 16, v9
	v_or_b32_e32 v16, v24, v16
	v_cndmask_b32_e32 v22, 0x7c00, v23, vcc_lo
	v_lshl_or_b32 v23, v21, 12, v6
	v_cmp_gt_i32_e32 vcc_lo, 1, v21
	v_cvt_f32_f16_e32 v3, v3
	v_cndmask_b32_e32 v16, v23, v16, vcc_lo
	v_cmp_ne_u32_e32 vcc_lo, 0, v10
	v_lshrrev_b32_e32 v23, 8, v11
	v_cvt_f64_f32_e32 v[2:3], v3
	v_cndmask_b32_e64 v10, 0, 1, vcc_lo
	v_cmp_eq_u32_e32 vcc_lo, 0x40f, v14
	v_bfe_u32 v14, v11, 20, 11
	v_and_or_b32 v12, 0x1ff, v13, v12
	v_and_or_b32 v10, 0xffe, v23, v10
	v_cndmask_b32_e32 v4, v22, v4, vcc_lo
	v_and_b32_e32 v22, 7, v16
	v_sub_nc_u32_e32 v23, 0x3f1, v14
	v_lshrrev_b32_e32 v16, 2, v16
	v_and_or_b32 v5, 0x8000, v5, v4
	v_cmp_lt_i32_e32 vcc_lo, 5, v22
	v_cmp_eq_u32_e64 s0, 3, v22
	v_or_b32_e32 v4, 0x1000, v10
	v_med3_i32 v8, v23, 0, 13
	v_lshrrev_b32_e32 v22, 8, v13
	v_bfe_u32 v23, v13, 20, 11
	s_or_b32 vcc_lo, s0, vcc_lo
	v_add_co_ci_u32_e32 v16, vcc_lo, 0, v16, vcc_lo
	v_lshrrev_b32_e32 v20, v8, v4
	v_cmp_ne_u32_e32 vcc_lo, 0, v12
	v_lshlrev_b32_e32 v8, v8, v20
	v_cndmask_b32_e64 v12, 0, 1, vcc_lo
	v_cmp_gt_i32_e32 vcc_lo, 31, v21
	v_and_or_b32 v12, 0xffe, v22, v12
	v_cndmask_b32_e32 v16, 0x7c00, v16, vcc_lo
	v_sub_nc_u32_e32 v22, 0x3f1, v23
	v_cmp_ne_u32_e32 vcc_lo, v8, v4
	v_add_nc_u32_e32 v8, 0xfffffc10, v14
	v_or_b32_e32 v14, 0x1000, v12
	v_med3_i32 v22, v22, 0, 13
	v_cndmask_b32_e64 v4, 0, 1, vcc_lo
	v_cmp_ne_u32_e32 vcc_lo, 0, v6
	v_lshl_or_b32 v24, v8, 12, v10
	v_lshrrev_b32_e32 v25, v22, v14
	v_or_b32_e32 v20, v20, v4
	v_cndmask_b32_e64 v6, 0, 1, vcc_lo
	v_cmp_gt_i32_e32 vcc_lo, 1, v8
	v_mul_f64 v[3:4], v[2:3], s[2:3]
	v_lshl_or_b32 v2, v5, 16, v15
	v_lshlrev_b32_e32 v5, v22, v25
	v_mul_f16_sdwa v15, v18, v26 dst_sel:DWORD dst_unused:UNUSED_PAD src0_sel:WORD_1 src1_sel:DWORD
	v_cndmask_b32_e32 v20, v24, v20, vcc_lo
	v_lshl_or_b32 v6, v6, 9, 0x7c00
	v_cmp_eq_u32_e32 vcc_lo, 0x40f, v21
	v_cmp_ne_u32_e64 s0, v5, v14
	v_fmac_f16_e32 v15, v18, v9
	v_and_b32_e32 v22, 7, v20
	v_add_nc_u32_e32 v14, 0xfffffc10, v23
	v_cndmask_b32_e32 v16, v16, v6, vcc_lo
	v_cndmask_b32_e64 v5, 0, 1, s0
	v_cvt_f32_f16_e32 v6, v15
	v_cmp_lt_i32_e32 vcc_lo, 5, v22
	v_cmp_eq_u32_e64 s0, 3, v22
	v_lshrrev_b32_e32 v15, 2, v20
	v_or_b32_e32 v20, v25, v5
	v_cvt_f64_f32_e32 v[5:6], v6
	v_lshl_or_b32 v21, v14, 12, v12
	s_or_b32 vcc_lo, s0, vcc_lo
	v_and_or_b32 v7, 0x8000, v7, v16
	v_add_co_ci_u32_e32 v15, vcc_lo, 0, v15, vcc_lo
	v_cmp_ne_u32_e32 vcc_lo, 0, v10
	v_and_or_b32 v3, 0x1ff, v4, v3
	v_bfe_u32 v22, v4, 20, 11
	v_mul_f16_sdwa v9, v18, v9 dst_sel:DWORD dst_unused:UNUSED_PAD src0_sel:WORD_1 src1_sel:DWORD
	v_and_b32_e32 v7, 0xffff, v7
	v_cndmask_b32_e64 v10, 0, 1, vcc_lo
	v_cmp_gt_i32_e32 vcc_lo, 1, v14
	v_fma_f16 v9, v18, v26, -v9
	v_lshl_or_b32 v10, v10, 9, 0x7c00
	v_cndmask_b32_e32 v20, v21, v20, vcc_lo
	v_cmp_ne_u32_e32 vcc_lo, 0, v3
	v_lshrrev_b32_e32 v21, 8, v4
	v_and_b32_e32 v23, 7, v20
	v_cndmask_b32_e64 v3, 0, 1, vcc_lo
	v_cmp_gt_i32_e32 vcc_lo, 31, v8
	v_mul_f64 v[5:6], v[5:6], s[2:3]
	v_lshrrev_b32_e32 v16, 2, v20
	v_cmp_eq_u32_e64 s0, 3, v23
	v_and_or_b32 v3, 0xffe, v21, v3
	v_cndmask_b32_e32 v15, 0x7c00, v15, vcc_lo
	v_add_co_u32 v0, vcc_lo, v0, s5
	v_add_co_ci_u32_e32 v1, vcc_lo, s4, v1, vcc_lo
	v_sub_nc_u32_e32 v21, 0x3f1, v22
	v_cmp_eq_u32_e32 vcc_lo, 0x40f, v8
	v_cndmask_b32_e32 v8, v15, v10, vcc_lo
	v_lshrrev_b32_e32 v10, 16, v11
	v_or_b32_e32 v11, 0x1000, v3
	v_med3_i32 v15, v21, 0, 13
	v_cmp_lt_i32_e32 vcc_lo, 5, v23
	v_and_or_b32 v8, 0x8000, v10, v8
	v_and_or_b32 v5, 0x1ff, v6, v5
	v_lshrrev_b32_e32 v10, v15, v11
	s_or_b32 vcc_lo, s0, vcc_lo
	v_lshrrev_b32_e32 v20, 8, v6
	v_add_co_ci_u32_e32 v16, vcc_lo, 0, v16, vcc_lo
	v_lshlrev_b32_e32 v15, v15, v10
	v_cmp_ne_u32_e32 vcc_lo, 0, v12
	v_lshl_or_b32 v18, v8, 16, v7
	v_cvt_f32_f16_e32 v7, v9
	v_bfe_u32 v21, v6, 20, 11
	v_lshrrev_b32_e32 v6, 16, v6
	v_cndmask_b32_e64 v12, 0, 1, vcc_lo
	v_cmp_ne_u32_e32 vcc_lo, v15, v11
	v_add_nc_u32_e32 v15, 0xfffffc10, v22
	v_cvt_f64_f32_e32 v[7:8], v7
	v_cndmask_b32_e64 v9, 0, 1, vcc_lo
	v_cmp_gt_i32_e32 vcc_lo, 31, v14
	v_or_b32_e32 v9, v10, v9
	v_cndmask_b32_e32 v11, 0x7c00, v16, vcc_lo
	v_cmp_ne_u32_e32 vcc_lo, 0, v5
	s_waitcnt lgkmcnt(0)
	v_lshrrev_b32_e32 v16, 16, v19
	v_lshl_or_b32 v10, v15, 12, v3
	v_cndmask_b32_e64 v5, 0, 1, vcc_lo
	v_cmp_gt_i32_e32 vcc_lo, 1, v15
	v_mul_f16_sdwa v22, v17, v16 dst_sel:DWORD dst_unused:UNUSED_PAD src0_sel:WORD_1 src1_sel:DWORD
	v_and_or_b32 v5, 0xffe, v20, v5
	v_sub_nc_u32_e32 v20, 0x3f1, v21
	v_cndmask_b32_e32 v23, v10, v9, vcc_lo
	v_fmac_f16_e32 v22, v17, v19
	v_lshl_or_b32 v9, v12, 9, 0x7c00
	v_or_b32_e32 v12, 0x1000, v5
	v_med3_i32 v20, v20, 0, 13
	v_cmp_eq_u32_e32 vcc_lo, 0x40f, v14
	v_and_b32_e32 v24, 7, v23
	v_cvt_f32_f16_e32 v10, v22
	v_mul_f16_sdwa v14, v17, v19 dst_sel:DWORD dst_unused:UNUSED_PAD src0_sel:WORD_1 src1_sel:DWORD
	v_lshrrev_b32_e32 v19, 16, v13
	v_cndmask_b32_e32 v22, v11, v9, vcc_lo
	v_lshrrev_b32_e32 v11, v20, v12
	v_cmp_lt_i32_e32 vcc_lo, 5, v24
	v_cmp_eq_u32_e64 s0, 3, v24
	v_lshrrev_b32_e32 v13, 2, v23
	v_cvt_f64_f32_e32 v[9:10], v10
	v_lshlrev_b32_e32 v20, v20, v11
	v_mul_f64 v[7:8], v[7:8], s[2:3]
	s_or_b32 vcc_lo, s0, vcc_lo
	v_fma_f16 v14, v17, v16, -v14
	v_add_co_ci_u32_e32 v13, vcc_lo, 0, v13, vcc_lo
	v_cmp_ne_u32_e32 vcc_lo, v20, v12
	v_add_nc_u32_e32 v16, 0xfffffc10, v21
	v_cvt_f32_f16_e32 v14, v14
	v_and_or_b32 v19, 0x8000, v19, v22
	v_cndmask_b32_e64 v12, 0, 1, vcc_lo
	v_cmp_ne_u32_e32 vcc_lo, 0, v3
	v_lshl_or_b32 v20, v16, 12, v5
	v_and_b32_e32 v19, 0xffff, v19
	v_or_b32_e32 v17, v11, v12
	v_cndmask_b32_e64 v3, 0, 1, vcc_lo
	v_cmp_gt_i32_e32 vcc_lo, 31, v15
	v_cvt_f64_f32_e32 v[11:12], v14
	v_mul_f64 v[9:10], v[9:10], s[2:3]
	v_lshl_or_b32 v3, v3, 9, 0x7c00
	v_cndmask_b32_e32 v21, 0x7c00, v13, vcc_lo
	v_add_co_u32 v13, vcc_lo, v0, s5
	v_add_co_ci_u32_e32 v14, vcc_lo, s4, v1, vcc_lo
	v_cmp_gt_i32_e32 vcc_lo, 1, v16
	v_and_or_b32 v7, 0x1ff, v8, v7
	v_cndmask_b32_e32 v17, v20, v17, vcc_lo
	v_cmp_eq_u32_e32 vcc_lo, 0x40f, v15
	v_bfe_u32 v20, v8, 20, 11
	v_and_b32_e32 v23, 7, v17
	v_cndmask_b32_e32 v15, v21, v3, vcc_lo
	v_cmp_ne_u32_e32 vcc_lo, 0, v7
	v_lshrrev_b32_e32 v7, 8, v8
	v_lshrrev_b32_e32 v21, 16, v4
	v_sub_nc_u32_e32 v22, 0x3f1, v20
	v_cmp_eq_u32_e64 s0, 3, v23
	v_cndmask_b32_e64 v3, 0, 1, vcc_lo
	v_cmp_lt_i32_e32 vcc_lo, 5, v23
	v_lshrrev_b32_e32 v17, 2, v17
	v_and_or_b32 v9, 0x1ff, v10, v9
	v_bfe_u32 v23, v10, 20, 11
	v_and_or_b32 v7, 0xffe, v7, v3
	v_mul_f64 v[3:4], v[11:12], s[2:3]
	v_and_or_b32 v11, 0x8000, v21, v15
	v_med3_i32 v15, v22, 0, 13
	s_or_b32 vcc_lo, s0, vcc_lo
	v_or_b32_e32 v12, 0x1000, v7
	v_add_co_ci_u32_e32 v17, vcc_lo, 0, v17, vcc_lo
	v_cmp_ne_u32_e32 vcc_lo, 0, v9
	v_lshrrev_b32_e32 v22, 8, v10
	v_lshrrev_b32_e32 v21, v15, v12
	;; [unrolled: 1-line block ×4, first 2 shown]
	v_cndmask_b32_e64 v9, 0, 1, vcc_lo
	v_cmp_ne_u32_e32 vcc_lo, 0, v5
	v_lshlrev_b32_e32 v15, v15, v21
	v_lshl_or_b32 v11, v11, 16, v19
	v_and_or_b32 v9, 0xffe, v22, v9
	v_cndmask_b32_e64 v5, 0, 1, vcc_lo
	v_cmp_ne_u32_e32 vcc_lo, v15, v12
	v_sub_nc_u32_e32 v22, 0x3f1, v23
	v_add_nc_u32_e32 v15, 0xfffffc10, v20
	v_and_or_b32 v3, 0x1ff, v4, v3
	v_or_b32_e32 v20, 0x1000, v9
	v_cndmask_b32_e64 v12, 0, 1, vcc_lo
	v_cmp_gt_i32_e32 vcc_lo, 31, v16
	v_med3_i32 v22, v22, 0, 13
	v_lshrrev_b32_e32 v24, 8, v4
	v_bfe_u32 v25, v4, 20, 11
	v_or_b32_e32 v12, v21, v12
	v_cndmask_b32_e32 v17, 0x7c00, v17, vcc_lo
	v_cmp_ne_u32_e32 vcc_lo, 0, v3
	v_lshl_or_b32 v21, v15, 12, v7
	v_lshrrev_b32_e32 v26, v22, v20
	v_lshl_or_b32 v5, v5, 9, 0x7c00
	v_cndmask_b32_e64 v3, 0, 1, vcc_lo
	v_cmp_gt_i32_e32 vcc_lo, 1, v15
	v_and_or_b32 v3, 0xffe, v24, v3
	v_sub_nc_u32_e32 v24, 0x3f1, v25
	v_cndmask_b32_e32 v12, v21, v12, vcc_lo
	v_lshlrev_b32_e32 v21, v22, v26
	v_cmp_eq_u32_e32 vcc_lo, 0x40f, v16
	v_or_b32_e32 v22, 0x1000, v3
	v_med3_i32 v24, v24, 0, 13
	v_and_b32_e32 v27, 7, v12
	v_lshrrev_b32_e32 v12, 2, v12
	v_cndmask_b32_e32 v5, v17, v5, vcc_lo
	v_cmp_ne_u32_e32 vcc_lo, v21, v20
	v_add_nc_u32_e32 v17, 0xfffffc10, v23
	v_lshrrev_b32_e32 v20, v24, v22
	v_cmp_eq_u32_e64 s0, 3, v27
	v_and_or_b32 v5, 0x8000, v6, v5
	v_cndmask_b32_e64 v16, 0, 1, vcc_lo
	v_lshl_or_b32 v21, v17, 12, v9
	v_lshlrev_b32_e32 v23, v24, v20
	v_cmp_gt_i32_e64 s1, 1, v17
	v_cmp_lt_i32_e32 vcc_lo, 5, v27
	v_or_b32_e32 v16, v26, v16
	v_and_b32_e32 v5, 0xffff, v5
	s_or_b32 vcc_lo, s0, vcc_lo
	v_cndmask_b32_e64 v16, v21, v16, s1
	v_cmp_ne_u32_e64 s1, v23, v22
	v_add_nc_u32_e32 v22, 0xfffffc10, v25
	v_add_co_ci_u32_e32 v12, vcc_lo, 0, v12, vcc_lo
	v_and_b32_e32 v23, 7, v16
	v_cndmask_b32_e64 v21, 0, 1, s1
	v_cmp_ne_u32_e32 vcc_lo, 0, v7
	v_cmp_gt_i32_e64 s0, 1, v22
	v_lshrrev_b32_e32 v16, 2, v16
	v_cmp_gt_i32_e64 s1, 31, v15
	v_or_b32_e32 v20, v20, v21
	v_lshl_or_b32 v21, v22, 12, v3
	v_cndmask_b32_e64 v7, 0, 1, vcc_lo
	v_cmp_lt_i32_e32 vcc_lo, 5, v23
	v_cndmask_b32_e64 v12, 0x7c00, v12, s1
	v_cmp_eq_u32_e64 s1, 0x40f, v15
	v_cndmask_b32_e64 v6, v21, v20, s0
	v_cmp_eq_u32_e64 s0, 3, v23
	v_lshl_or_b32 v7, v7, 9, 0x7c00
	v_and_b32_e32 v20, 7, v6
	s_or_b32 vcc_lo, s0, vcc_lo
	v_lshrrev_b32_e32 v6, 2, v6
	v_add_co_ci_u32_e32 v16, vcc_lo, 0, v16, vcc_lo
	v_cmp_ne_u32_e32 vcc_lo, 0, v9
	v_cmp_eq_u32_e64 s0, 3, v20
	v_cndmask_b32_e64 v7, v12, v7, s1
	v_cmp_gt_i32_e64 s1, 31, v17
	v_cndmask_b32_e64 v9, 0, 1, vcc_lo
	v_cmp_lt_i32_e32 vcc_lo, 5, v20
	v_and_or_b32 v7, 0x8000, v8, v7
	v_cndmask_b32_e64 v12, 0x7c00, v16, s1
	v_lshl_or_b32 v9, v9, 9, 0x7c00
	s_or_b32 vcc_lo, s0, vcc_lo
	v_add_co_ci_u32_e32 v6, vcc_lo, 0, v6, vcc_lo
	v_cmp_ne_u32_e32 vcc_lo, 0, v3
	v_cndmask_b32_e64 v3, 0, 1, vcc_lo
	v_cmp_eq_u32_e32 vcc_lo, 0x40f, v17
	v_lshl_or_b32 v3, v3, 9, 0x7c00
	v_cndmask_b32_e32 v9, v12, v9, vcc_lo
	v_cmp_gt_i32_e32 vcc_lo, 31, v22
	v_and_or_b32 v8, 0x8000, v10, v9
	v_cndmask_b32_e32 v6, 0x7c00, v6, vcc_lo
	v_cmp_eq_u32_e32 vcc_lo, 0x40f, v22
	v_lshrrev_b32_e32 v9, 16, v4
	v_lshl_or_b32 v10, v7, 16, v5
	v_and_b32_e32 v8, 0xffff, v8
	v_cndmask_b32_e32 v6, v6, v3, vcc_lo
	v_add_co_u32 v3, vcc_lo, v13, s5
	v_add_co_ci_u32_e32 v4, vcc_lo, s4, v14, vcc_lo
	v_and_or_b32 v7, 0x8000, v9, v6
	v_add_co_u32 v5, vcc_lo, v3, s5
	v_add_co_ci_u32_e32 v6, vcc_lo, s4, v4, vcc_lo
	v_lshl_or_b32 v9, v7, 16, v8
	v_add_co_u32 v7, vcc_lo, v5, s5
	v_add_co_ci_u32_e32 v8, vcc_lo, s4, v6, vcc_lo
	global_store_dword v[0:1], v2, off
	global_store_dword v[13:14], v18, off
	;; [unrolled: 1-line block ×5, first 2 shown]
.LBB0_2:
	s_endpgm
	.section	.rodata,"a",@progbits
	.p2align	6, 0x0
	.amdhsa_kernel bluestein_single_fwd_len169_dim1_half_op_CI_CI
		.amdhsa_group_segment_fixed_size 12844
		.amdhsa_private_segment_fixed_size 0
		.amdhsa_kernarg_size 104
		.amdhsa_user_sgpr_count 6
		.amdhsa_user_sgpr_private_segment_buffer 1
		.amdhsa_user_sgpr_dispatch_ptr 0
		.amdhsa_user_sgpr_queue_ptr 0
		.amdhsa_user_sgpr_kernarg_segment_ptr 1
		.amdhsa_user_sgpr_dispatch_id 0
		.amdhsa_user_sgpr_flat_scratch_init 0
		.amdhsa_user_sgpr_private_segment_size 0
		.amdhsa_wavefront_size32 1
		.amdhsa_uses_dynamic_stack 0
		.amdhsa_system_sgpr_private_segment_wavefront_offset 0
		.amdhsa_system_sgpr_workgroup_id_x 1
		.amdhsa_system_sgpr_workgroup_id_y 0
		.amdhsa_system_sgpr_workgroup_id_z 0
		.amdhsa_system_sgpr_workgroup_info 0
		.amdhsa_system_vgpr_workitem_id 0
		.amdhsa_next_free_vgpr 142
		.amdhsa_next_free_sgpr 20
		.amdhsa_reserve_vcc 1
		.amdhsa_reserve_flat_scratch 0
		.amdhsa_float_round_mode_32 0
		.amdhsa_float_round_mode_16_64 0
		.amdhsa_float_denorm_mode_32 3
		.amdhsa_float_denorm_mode_16_64 3
		.amdhsa_dx10_clamp 1
		.amdhsa_ieee_mode 1
		.amdhsa_fp16_overflow 0
		.amdhsa_workgroup_processor_mode 1
		.amdhsa_memory_ordered 1
		.amdhsa_forward_progress 0
		.amdhsa_shared_vgpr_count 0
		.amdhsa_exception_fp_ieee_invalid_op 0
		.amdhsa_exception_fp_denorm_src 0
		.amdhsa_exception_fp_ieee_div_zero 0
		.amdhsa_exception_fp_ieee_overflow 0
		.amdhsa_exception_fp_ieee_underflow 0
		.amdhsa_exception_fp_ieee_inexact 0
		.amdhsa_exception_int_div_zero 0
	.end_amdhsa_kernel
	.text
.Lfunc_end0:
	.size	bluestein_single_fwd_len169_dim1_half_op_CI_CI, .Lfunc_end0-bluestein_single_fwd_len169_dim1_half_op_CI_CI
                                        ; -- End function
	.section	.AMDGPU.csdata,"",@progbits
; Kernel info:
; codeLenInByte = 22636
; NumSgprs: 22
; NumVgprs: 142
; ScratchSize: 0
; MemoryBound: 0
; FloatMode: 240
; IeeeMode: 1
; LDSByteSize: 12844 bytes/workgroup (compile time only)
; SGPRBlocks: 2
; VGPRBlocks: 17
; NumSGPRsForWavesPerEU: 22
; NumVGPRsForWavesPerEU: 142
; Occupancy: 7
; WaveLimiterHint : 1
; COMPUTE_PGM_RSRC2:SCRATCH_EN: 0
; COMPUTE_PGM_RSRC2:USER_SGPR: 6
; COMPUTE_PGM_RSRC2:TRAP_HANDLER: 0
; COMPUTE_PGM_RSRC2:TGID_X_EN: 1
; COMPUTE_PGM_RSRC2:TGID_Y_EN: 0
; COMPUTE_PGM_RSRC2:TGID_Z_EN: 0
; COMPUTE_PGM_RSRC2:TIDIG_COMP_CNT: 0
	.text
	.p2alignl 6, 3214868480
	.fill 48, 4, 3214868480
	.type	__hip_cuid_124ae553396e50ea,@object ; @__hip_cuid_124ae553396e50ea
	.section	.bss,"aw",@nobits
	.globl	__hip_cuid_124ae553396e50ea
__hip_cuid_124ae553396e50ea:
	.byte	0                               ; 0x0
	.size	__hip_cuid_124ae553396e50ea, 1

	.ident	"AMD clang version 19.0.0git (https://github.com/RadeonOpenCompute/llvm-project roc-6.4.0 25133 c7fe45cf4b819c5991fe208aaa96edf142730f1d)"
	.section	".note.GNU-stack","",@progbits
	.addrsig
	.addrsig_sym __hip_cuid_124ae553396e50ea
	.amdgpu_metadata
---
amdhsa.kernels:
  - .args:
      - .actual_access:  read_only
        .address_space:  global
        .offset:         0
        .size:           8
        .value_kind:     global_buffer
      - .actual_access:  read_only
        .address_space:  global
        .offset:         8
        .size:           8
        .value_kind:     global_buffer
      - .actual_access:  read_only
        .address_space:  global
        .offset:         16
        .size:           8
        .value_kind:     global_buffer
      - .actual_access:  read_only
        .address_space:  global
        .offset:         24
        .size:           8
        .value_kind:     global_buffer
      - .actual_access:  read_only
        .address_space:  global
        .offset:         32
        .size:           8
        .value_kind:     global_buffer
      - .offset:         40
        .size:           8
        .value_kind:     by_value
      - .address_space:  global
        .offset:         48
        .size:           8
        .value_kind:     global_buffer
      - .address_space:  global
        .offset:         56
        .size:           8
        .value_kind:     global_buffer
      - .address_space:  global
        .offset:         64
        .size:           8
        .value_kind:     global_buffer
      - .address_space:  global
        .offset:         72
        .size:           8
        .value_kind:     global_buffer
      - .offset:         80
        .size:           4
        .value_kind:     by_value
      - .address_space:  global
        .offset:         88
        .size:           8
        .value_kind:     global_buffer
      - .address_space:  global
        .offset:         96
        .size:           8
        .value_kind:     global_buffer
    .group_segment_fixed_size: 12844
    .kernarg_segment_align: 8
    .kernarg_segment_size: 104
    .language:       OpenCL C
    .language_version:
      - 2
      - 0
    .max_flat_workgroup_size: 247
    .name:           bluestein_single_fwd_len169_dim1_half_op_CI_CI
    .private_segment_fixed_size: 0
    .sgpr_count:     22
    .sgpr_spill_count: 0
    .symbol:         bluestein_single_fwd_len169_dim1_half_op_CI_CI.kd
    .uniform_work_group_size: 1
    .uses_dynamic_stack: false
    .vgpr_count:     142
    .vgpr_spill_count: 0
    .wavefront_size: 32
    .workgroup_processor_mode: 1
amdhsa.target:   amdgcn-amd-amdhsa--gfx1030
amdhsa.version:
  - 1
  - 2
...

	.end_amdgpu_metadata
